;; amdgpu-corpus repo=ROCm/rocSPARSE kind=compiled arch=gfx906 opt=O3
	.amdgcn_target "amdgcn-amd-amdhsa--gfx906"
	.amdhsa_code_object_version 6
	.section	.text._ZN9rocsparseL19fill_row_ptr_deviceILj1024EEEvi21rocsparse_index_base_PKiPi,"axG",@progbits,_ZN9rocsparseL19fill_row_ptr_deviceILj1024EEEvi21rocsparse_index_base_PKiPi,comdat
	.globl	_ZN9rocsparseL19fill_row_ptr_deviceILj1024EEEvi21rocsparse_index_base_PKiPi ; -- Begin function _ZN9rocsparseL19fill_row_ptr_deviceILj1024EEEvi21rocsparse_index_base_PKiPi
	.p2align	8
	.type	_ZN9rocsparseL19fill_row_ptr_deviceILj1024EEEvi21rocsparse_index_base_PKiPi,@function
_ZN9rocsparseL19fill_row_ptr_deviceILj1024EEEvi21rocsparse_index_base_PKiPi: ; @_ZN9rocsparseL19fill_row_ptr_deviceILj1024EEEvi21rocsparse_index_base_PKiPi
; %bb.0:
	s_load_dwordx2 s[8:9], s[4:5], 0x0
	v_lshl_or_b32 v0, s6, 10, v0
	s_waitcnt lgkmcnt(0)
	v_cmp_gt_i32_e32 vcc, s8, v0
	s_and_saveexec_b64 s[0:1], vcc
	s_cbranch_execz .LBB0_3
; %bb.1:
	s_load_dwordx4 s[0:3], s[4:5], 0x8
	v_ashrrev_i32_e32 v1, 31, v0
	v_lshlrev_b64 v[1:2], 2, v[0:1]
	s_waitcnt lgkmcnt(0)
	v_mov_b32_e32 v4, s1
	v_add_co_u32_e32 v3, vcc, s0, v1
	v_addc_co_u32_e32 v4, vcc, v4, v2, vcc
	global_load_dword v3, v[3:4], off
	v_mov_b32_e32 v4, s3
	v_add_co_u32_e32 v1, vcc, s2, v1
	v_addc_co_u32_e32 v2, vcc, v4, v2, vcc
	v_cmp_eq_u32_e32 vcc, 0, v0
	s_waitcnt vmcnt(0)
	global_store_dword v[1:2], v3, off offset:4
	s_and_b64 exec, exec, vcc
	s_cbranch_execz .LBB0_3
; %bb.2:
	v_mov_b32_e32 v0, 0
	v_mov_b32_e32 v1, s9
	global_store_dword v0, v1, s[2:3]
.LBB0_3:
	s_endpgm
	.section	.rodata,"a",@progbits
	.p2align	6, 0x0
	.amdhsa_kernel _ZN9rocsparseL19fill_row_ptr_deviceILj1024EEEvi21rocsparse_index_base_PKiPi
		.amdhsa_group_segment_fixed_size 0
		.amdhsa_private_segment_fixed_size 0
		.amdhsa_kernarg_size 24
		.amdhsa_user_sgpr_count 6
		.amdhsa_user_sgpr_private_segment_buffer 1
		.amdhsa_user_sgpr_dispatch_ptr 0
		.amdhsa_user_sgpr_queue_ptr 0
		.amdhsa_user_sgpr_kernarg_segment_ptr 1
		.amdhsa_user_sgpr_dispatch_id 0
		.amdhsa_user_sgpr_flat_scratch_init 0
		.amdhsa_user_sgpr_private_segment_size 0
		.amdhsa_uses_dynamic_stack 0
		.amdhsa_system_sgpr_private_segment_wavefront_offset 0
		.amdhsa_system_sgpr_workgroup_id_x 1
		.amdhsa_system_sgpr_workgroup_id_y 0
		.amdhsa_system_sgpr_workgroup_id_z 0
		.amdhsa_system_sgpr_workgroup_info 0
		.amdhsa_system_vgpr_workitem_id 0
		.amdhsa_next_free_vgpr 5
		.amdhsa_next_free_sgpr 10
		.amdhsa_reserve_vcc 1
		.amdhsa_reserve_flat_scratch 0
		.amdhsa_float_round_mode_32 0
		.amdhsa_float_round_mode_16_64 0
		.amdhsa_float_denorm_mode_32 3
		.amdhsa_float_denorm_mode_16_64 3
		.amdhsa_dx10_clamp 1
		.amdhsa_ieee_mode 1
		.amdhsa_fp16_overflow 0
		.amdhsa_exception_fp_ieee_invalid_op 0
		.amdhsa_exception_fp_denorm_src 0
		.amdhsa_exception_fp_ieee_div_zero 0
		.amdhsa_exception_fp_ieee_overflow 0
		.amdhsa_exception_fp_ieee_underflow 0
		.amdhsa_exception_fp_ieee_inexact 0
		.amdhsa_exception_int_div_zero 0
	.end_amdhsa_kernel
	.section	.text._ZN9rocsparseL19fill_row_ptr_deviceILj1024EEEvi21rocsparse_index_base_PKiPi,"axG",@progbits,_ZN9rocsparseL19fill_row_ptr_deviceILj1024EEEvi21rocsparse_index_base_PKiPi,comdat
.Lfunc_end0:
	.size	_ZN9rocsparseL19fill_row_ptr_deviceILj1024EEEvi21rocsparse_index_base_PKiPi, .Lfunc_end0-_ZN9rocsparseL19fill_row_ptr_deviceILj1024EEEvi21rocsparse_index_base_PKiPi
                                        ; -- End function
	.set _ZN9rocsparseL19fill_row_ptr_deviceILj1024EEEvi21rocsparse_index_base_PKiPi.num_vgpr, 5
	.set _ZN9rocsparseL19fill_row_ptr_deviceILj1024EEEvi21rocsparse_index_base_PKiPi.num_agpr, 0
	.set _ZN9rocsparseL19fill_row_ptr_deviceILj1024EEEvi21rocsparse_index_base_PKiPi.numbered_sgpr, 10
	.set _ZN9rocsparseL19fill_row_ptr_deviceILj1024EEEvi21rocsparse_index_base_PKiPi.num_named_barrier, 0
	.set _ZN9rocsparseL19fill_row_ptr_deviceILj1024EEEvi21rocsparse_index_base_PKiPi.private_seg_size, 0
	.set _ZN9rocsparseL19fill_row_ptr_deviceILj1024EEEvi21rocsparse_index_base_PKiPi.uses_vcc, 1
	.set _ZN9rocsparseL19fill_row_ptr_deviceILj1024EEEvi21rocsparse_index_base_PKiPi.uses_flat_scratch, 0
	.set _ZN9rocsparseL19fill_row_ptr_deviceILj1024EEEvi21rocsparse_index_base_PKiPi.has_dyn_sized_stack, 0
	.set _ZN9rocsparseL19fill_row_ptr_deviceILj1024EEEvi21rocsparse_index_base_PKiPi.has_recursion, 0
	.set _ZN9rocsparseL19fill_row_ptr_deviceILj1024EEEvi21rocsparse_index_base_PKiPi.has_indirect_call, 0
	.section	.AMDGPU.csdata,"",@progbits
; Kernel info:
; codeLenInByte = 132
; TotalNumSgprs: 14
; NumVgprs: 5
; ScratchSize: 0
; MemoryBound: 0
; FloatMode: 240
; IeeeMode: 1
; LDSByteSize: 0 bytes/workgroup (compile time only)
; SGPRBlocks: 1
; VGPRBlocks: 1
; NumSGPRsForWavesPerEU: 14
; NumVGPRsForWavesPerEU: 5
; Occupancy: 10
; WaveLimiterHint : 0
; COMPUTE_PGM_RSRC2:SCRATCH_EN: 0
; COMPUTE_PGM_RSRC2:USER_SGPR: 6
; COMPUTE_PGM_RSRC2:TRAP_HANDLER: 0
; COMPUTE_PGM_RSRC2:TGID_X_EN: 1
; COMPUTE_PGM_RSRC2:TGID_Y_EN: 0
; COMPUTE_PGM_RSRC2:TGID_Z_EN: 0
; COMPUTE_PGM_RSRC2:TIDIG_COMP_CNT: 0
	.section	.text._ZN9rocsparseL39csr2csr_compress_fill_warp_start_deviceILj256ELj32ELj2EfEEviPKT2_PjS1_,"axG",@progbits,_ZN9rocsparseL39csr2csr_compress_fill_warp_start_deviceILj256ELj32ELj2EfEEviPKT2_PjS1_,comdat
	.globl	_ZN9rocsparseL39csr2csr_compress_fill_warp_start_deviceILj256ELj32ELj2EfEEviPKT2_PjS1_ ; -- Begin function _ZN9rocsparseL39csr2csr_compress_fill_warp_start_deviceILj256ELj32ELj2EfEEviPKT2_PjS1_
	.p2align	8
	.type	_ZN9rocsparseL39csr2csr_compress_fill_warp_start_deviceILj256ELj32ELj2EfEEviPKT2_PjS1_,@function
_ZN9rocsparseL39csr2csr_compress_fill_warp_start_deviceILj256ELj32ELj2EfEEviPKT2_PjS1_: ; @_ZN9rocsparseL39csr2csr_compress_fill_warp_start_deviceILj256ELj32ELj2EfEEviPKT2_PjS1_
; %bb.0:
	s_load_dwordx4 s[8:11], s[4:5], 0x8
	v_lshl_or_b32 v2, s6, 9, v0
	v_cmp_eq_u32_e32 vcc, 0, v2
	s_and_saveexec_b64 s[0:1], vcc
	s_cbranch_execz .LBB1_2
; %bb.1:
	v_mov_b32_e32 v1, 0
	s_waitcnt lgkmcnt(0)
	global_store_dword v1, v1, s[10:11]
.LBB1_2:
	s_or_b64 exec, exec, s[0:1]
	s_load_dword s18, s[4:5], 0x0
	s_load_dword s16, s[4:5], 0x18
	v_lshrrev_b32_e32 v0, 5, v0
	v_lshl_or_b32 v0, s6, 4, v0
	s_mov_b64 s[6:7], 0
	s_waitcnt lgkmcnt(0)
	s_add_i32 s0, s18, -1
	v_cmp_gt_i32_e32 vcc, s18, v2
	s_lshr_b32 s17, s0, 5
	s_mov_b64 s[0:1], -1
	s_and_saveexec_b64 s[12:13], vcc
	s_cbranch_execnz .LBB1_6
; %bb.3:
	s_or_b64 exec, exec, s[12:13]
	s_and_saveexec_b64 s[12:13], s[0:1]
	s_cbranch_execnz .LBB1_9
.LBB1_4:
	s_or_b64 exec, exec, s[12:13]
	s_and_saveexec_b64 s[0:1], s[6:7]
	s_xor_b64 s[0:1], exec, s[0:1]
	s_cbranch_execnz .LBB1_14
.LBB1_5:
	s_endpgm
.LBB1_6:
	v_ashrrev_i32_e32 v3, 31, v2
	v_lshlrev_b64 v[3:4], 2, v[2:3]
	v_mov_b32_e32 v1, s9
	v_add_co_u32_e32 v3, vcc, s8, v3
	v_addc_co_u32_e32 v4, vcc, v1, v4, vcc
	global_load_dword v1, v[3:4], off glc slc
	s_mov_b32 s2, 0x800000
	v_cmp_ge_u32_e64 s[0:1], s17, v0
	s_mov_b64 s[14:15], 0
	s_mov_b64 s[6:7], -1
	s_waitcnt vmcnt(0)
	v_cmp_gt_f32_e32 vcc, 0, v1
	v_cndmask_b32_e64 v1, v1, -v1, vcc
	v_cmp_lt_f32_e32 vcc, s16, v1
	v_cmp_lt_f32_e64 s[2:3], s2, v1
	s_and_b64 s[2:3], vcc, s[2:3]
	v_cndmask_b32_e64 v1, 0, 1, s[2:3]
	v_cmp_ne_u32_e32 vcc, 0, v1
	s_and_saveexec_b64 s[2:3], s[0:1]
	s_cbranch_execz .LBB1_8
; %bb.7:
	v_mov_b32_e32 v1, 0
	v_lshlrev_b64 v[3:4], 2, v[0:1]
	s_bcnt1_i32_b64 s0, vcc
	v_mov_b32_e32 v1, s11
	v_add_co_u32_e32 v3, vcc, s10, v3
	s_mov_b64 s[14:15], exec
	v_addc_co_u32_e32 v4, vcc, v1, v4, vcc
	v_mov_b32_e32 v1, s0
	s_xor_b64 s[6:7], exec, -1
	global_store_dword v[3:4], v1, off offset:4
.LBB1_8:
	s_or_b64 exec, exec, s[2:3]
	s_and_b64 s[6:7], s[6:7], exec
	s_orn2_b64 s[0:1], s[14:15], exec
	s_or_b64 exec, exec, s[12:13]
	s_and_saveexec_b64 s[12:13], s[0:1]
	s_cbranch_execz .LBB1_4
.LBB1_9:
	v_add_u32_e32 v1, 0x100, v2
	v_cmp_gt_i32_e32 vcc, s18, v1
	s_mov_b64 s[0:1], s[6:7]
	s_and_saveexec_b64 s[14:15], vcc
	s_cbranch_execz .LBB1_13
; %bb.10:
	v_ashrrev_i32_e32 v3, 31, v2
	v_lshlrev_b64 v[1:2], 2, v[2:3]
	v_mov_b32_e32 v3, s9
	v_add_co_u32_e32 v1, vcc, s8, v1
	v_addc_co_u32_e32 v2, vcc, v3, v2, vcc
	global_load_dword v1, v[1:2], off offset:1024 glc slc
	s_mov_b32 s2, 0x800000
	v_add_u32_e32 v0, 8, v0
	v_cmp_ge_u32_e64 s[0:1], s17, v0
	s_waitcnt vmcnt(0)
	v_cmp_gt_f32_e32 vcc, 0, v1
	v_cndmask_b32_e64 v1, v1, -v1, vcc
	v_cmp_lt_f32_e32 vcc, s16, v1
	v_cmp_lt_f32_e64 s[2:3], s2, v1
	s_and_b64 s[2:3], vcc, s[2:3]
	v_cndmask_b32_e64 v1, 0, 1, s[2:3]
	v_cmp_ne_u32_e32 vcc, 0, v1
	s_mov_b64 s[2:3], -1
	s_and_saveexec_b64 s[8:9], s[0:1]
	s_xor_b64 s[0:1], exec, s[8:9]
	s_cbranch_execz .LBB1_12
; %bb.11:
	v_mov_b32_e32 v1, 0
	v_lshlrev_b64 v[0:1], 2, v[0:1]
	s_bcnt1_i32_b64 s2, vcc
	v_mov_b32_e32 v2, s11
	v_add_co_u32_e32 v0, vcc, s10, v0
	v_addc_co_u32_e32 v1, vcc, v2, v1, vcc
	v_mov_b32_e32 v2, s2
	global_store_dword v[0:1], v2, off offset:4
	s_xor_b64 s[2:3], exec, -1
.LBB1_12:
	s_or_b64 exec, exec, s[0:1]
	s_andn2_b64 s[0:1], s[6:7], exec
	s_and_b64 s[2:3], s[2:3], exec
	s_or_b64 s[0:1], s[0:1], s[2:3]
.LBB1_13:
	s_or_b64 exec, exec, s[14:15]
	s_andn2_b64 s[2:3], s[6:7], exec
	s_and_b64 s[0:1], s[0:1], exec
	s_or_b64 s[6:7], s[2:3], s[0:1]
	s_or_b64 exec, exec, s[12:13]
	s_and_saveexec_b64 s[0:1], s[6:7]
	s_xor_b64 s[0:1], exec, s[0:1]
	s_cbranch_execz .LBB1_5
.LBB1_14:
	s_load_dwordx2 s[2:3], s[4:5], 0x70
	v_mbcnt_lo_u32_b32 v0, -1, 0
	v_mbcnt_hi_u32_b32 v32, -1, v0
	v_readfirstlane_b32 s0, v32
	v_mov_b32_e32 v5, 0
	v_mov_b32_e32 v6, 0
	v_cmp_eq_u32_e64 s[0:1], s0, v32
	s_and_saveexec_b64 s[4:5], s[0:1]
	s_cbranch_execz .LBB1_20
; %bb.15:
	v_mov_b32_e32 v0, 0
	s_waitcnt lgkmcnt(0)
	global_load_dwordx2 v[3:4], v0, s[2:3] offset:24 glc
	s_waitcnt vmcnt(0)
	buffer_wbinvl1_vol
	global_load_dwordx2 v[1:2], v0, s[2:3] offset:40
	global_load_dwordx2 v[5:6], v0, s[2:3]
	s_waitcnt vmcnt(1)
	v_and_b32_e32 v1, v1, v3
	v_and_b32_e32 v2, v2, v4
	v_mul_lo_u32 v2, v2, 24
	v_mul_hi_u32 v7, v1, 24
	v_mul_lo_u32 v1, v1, 24
	v_add_u32_e32 v2, v7, v2
	s_waitcnt vmcnt(0)
	v_add_co_u32_e32 v1, vcc, v5, v1
	v_addc_co_u32_e32 v2, vcc, v6, v2, vcc
	global_load_dwordx2 v[1:2], v[1:2], off glc
	s_waitcnt vmcnt(0)
	global_atomic_cmpswap_x2 v[5:6], v0, v[1:4], s[2:3] offset:24 glc
	s_waitcnt vmcnt(0)
	buffer_wbinvl1_vol
	v_cmp_ne_u64_e32 vcc, v[5:6], v[3:4]
	s_and_saveexec_b64 s[6:7], vcc
	s_cbranch_execz .LBB1_19
; %bb.16:
	s_mov_b64 s[8:9], 0
.LBB1_17:                               ; =>This Inner Loop Header: Depth=1
	s_sleep 1
	global_load_dwordx2 v[1:2], v0, s[2:3] offset:40
	global_load_dwordx2 v[7:8], v0, s[2:3]
	v_mov_b32_e32 v3, v5
	v_mov_b32_e32 v4, v6
	s_waitcnt vmcnt(1)
	v_and_b32_e32 v1, v1, v3
	s_waitcnt vmcnt(0)
	v_mad_u64_u32 v[5:6], s[10:11], v1, 24, v[7:8]
	v_and_b32_e32 v2, v2, v4
	v_mov_b32_e32 v1, v6
	v_mad_u64_u32 v[1:2], s[10:11], v2, 24, v[1:2]
	v_mov_b32_e32 v6, v1
	global_load_dwordx2 v[1:2], v[5:6], off glc
	s_waitcnt vmcnt(0)
	global_atomic_cmpswap_x2 v[5:6], v0, v[1:4], s[2:3] offset:24 glc
	s_waitcnt vmcnt(0)
	buffer_wbinvl1_vol
	v_cmp_eq_u64_e32 vcc, v[5:6], v[3:4]
	s_or_b64 s[8:9], vcc, s[8:9]
	s_andn2_b64 exec, exec, s[8:9]
	s_cbranch_execnz .LBB1_17
; %bb.18:
	s_or_b64 exec, exec, s[8:9]
.LBB1_19:
	s_or_b64 exec, exec, s[6:7]
.LBB1_20:
	s_or_b64 exec, exec, s[4:5]
	v_mov_b32_e32 v4, 0
	s_waitcnt lgkmcnt(0)
	global_load_dwordx2 v[7:8], v4, s[2:3] offset:40
	global_load_dwordx4 v[0:3], v4, s[2:3]
	v_readfirstlane_b32 s5, v6
	v_readfirstlane_b32 s4, v5
	s_mov_b64 s[6:7], exec
	s_waitcnt vmcnt(1)
	v_readfirstlane_b32 s8, v7
	v_readfirstlane_b32 s9, v8
	s_and_b64 s[8:9], s[8:9], s[4:5]
	s_mul_i32 s10, s9, 24
	s_mul_hi_u32 s11, s8, 24
	s_mul_i32 s12, s8, 24
	s_add_i32 s10, s11, s10
	v_mov_b32_e32 v5, s10
	s_waitcnt vmcnt(0)
	v_add_co_u32_e32 v7, vcc, s12, v0
	v_addc_co_u32_e32 v8, vcc, v1, v5, vcc
	s_and_saveexec_b64 s[10:11], s[0:1]
	s_cbranch_execz .LBB1_22
; %bb.21:
	v_mov_b32_e32 v10, s7
	v_mov_b32_e32 v9, s6
	v_mov_b32_e32 v11, 2
	v_mov_b32_e32 v12, 1
	global_store_dwordx4 v[7:8], v[9:12], off offset:8
.LBB1_22:
	s_or_b64 exec, exec, s[10:11]
	s_lshl_b64 s[6:7], s[8:9], 12
	v_mov_b32_e32 v5, s7
	v_add_co_u32_e32 v2, vcc, s6, v2
	v_addc_co_u32_e32 v11, vcc, v3, v5, vcc
	v_lshlrev_b32_e32 v31, 6, v32
	s_mov_b32 s8, 0
	v_mov_b32_e32 v3, 33
	v_mov_b32_e32 v5, v4
	;; [unrolled: 1-line block ×3, first 2 shown]
	v_readfirstlane_b32 s6, v2
	v_readfirstlane_b32 s7, v11
	v_add_co_u32_e32 v9, vcc, v2, v31
	s_mov_b32 s9, s8
	s_mov_b32 s10, s8
	;; [unrolled: 1-line block ×3, first 2 shown]
	s_nop 0
	global_store_dwordx4 v31, v[3:6], s[6:7]
	v_mov_b32_e32 v2, s8
	v_addc_co_u32_e32 v10, vcc, 0, v11, vcc
	v_mov_b32_e32 v3, s9
	v_mov_b32_e32 v4, s10
	;; [unrolled: 1-line block ×3, first 2 shown]
	global_store_dwordx4 v31, v[2:5], s[6:7] offset:16
	global_store_dwordx4 v31, v[2:5], s[6:7] offset:32
	;; [unrolled: 1-line block ×3, first 2 shown]
	s_and_saveexec_b64 s[6:7], s[0:1]
	s_cbranch_execz .LBB1_30
; %bb.23:
	v_mov_b32_e32 v6, 0
	global_load_dwordx2 v[13:14], v6, s[2:3] offset:32 glc
	global_load_dwordx2 v[2:3], v6, s[2:3] offset:40
	v_mov_b32_e32 v11, s4
	v_mov_b32_e32 v12, s5
	s_waitcnt vmcnt(0)
	v_and_b32_e32 v2, s4, v2
	v_and_b32_e32 v3, s5, v3
	v_mul_lo_u32 v3, v3, 24
	v_mul_hi_u32 v4, v2, 24
	v_mul_lo_u32 v2, v2, 24
	v_add_u32_e32 v3, v4, v3
	v_add_co_u32_e32 v4, vcc, v0, v2
	v_addc_co_u32_e32 v5, vcc, v1, v3, vcc
	global_store_dwordx2 v[4:5], v[13:14], off
	s_waitcnt vmcnt(0)
	global_atomic_cmpswap_x2 v[2:3], v6, v[11:14], s[2:3] offset:32 glc
	s_waitcnt vmcnt(0)
	v_cmp_ne_u64_e32 vcc, v[2:3], v[13:14]
	s_and_saveexec_b64 s[8:9], vcc
	s_cbranch_execz .LBB1_26
; %bb.24:
	s_mov_b64 s[10:11], 0
.LBB1_25:                               ; =>This Inner Loop Header: Depth=1
	s_sleep 1
	global_store_dwordx2 v[4:5], v[2:3], off
	v_mov_b32_e32 v0, s4
	v_mov_b32_e32 v1, s5
	s_waitcnt vmcnt(0)
	global_atomic_cmpswap_x2 v[0:1], v6, v[0:3], s[2:3] offset:32 glc
	s_waitcnt vmcnt(0)
	v_cmp_eq_u64_e32 vcc, v[0:1], v[2:3]
	v_mov_b32_e32 v3, v1
	s_or_b64 s[10:11], vcc, s[10:11]
	v_mov_b32_e32 v2, v0
	s_andn2_b64 exec, exec, s[10:11]
	s_cbranch_execnz .LBB1_25
.LBB1_26:
	s_or_b64 exec, exec, s[8:9]
	v_mov_b32_e32 v3, 0
	global_load_dwordx2 v[0:1], v3, s[2:3] offset:16
	s_mov_b64 s[8:9], exec
	v_mbcnt_lo_u32_b32 v2, s8, 0
	v_mbcnt_hi_u32_b32 v2, s9, v2
	v_cmp_eq_u32_e32 vcc, 0, v2
	s_and_saveexec_b64 s[10:11], vcc
	s_cbranch_execz .LBB1_28
; %bb.27:
	s_bcnt1_i32_b64 s8, s[8:9]
	v_mov_b32_e32 v2, s8
	s_waitcnt vmcnt(0)
	global_atomic_add_x2 v[0:1], v[2:3], off offset:8
.LBB1_28:
	s_or_b64 exec, exec, s[10:11]
	s_waitcnt vmcnt(0)
	global_load_dwordx2 v[2:3], v[0:1], off offset:16
	s_waitcnt vmcnt(0)
	v_cmp_eq_u64_e32 vcc, 0, v[2:3]
	s_cbranch_vccnz .LBB1_30
; %bb.29:
	global_load_dword v0, v[0:1], off offset:24
	v_mov_b32_e32 v1, 0
	s_waitcnt vmcnt(0)
	v_readfirstlane_b32 s8, v0
	s_and_b32 m0, s8, 0xffffff
	global_store_dwordx2 v[2:3], v[0:1], off
	s_sendmsg sendmsg(MSG_INTERRUPT)
.LBB1_30:
	s_or_b64 exec, exec, s[6:7]
	s_branch .LBB1_34
.LBB1_31:                               ;   in Loop: Header=BB1_34 Depth=1
	s_or_b64 exec, exec, s[6:7]
	v_readfirstlane_b32 s6, v0
	s_cmp_eq_u32 s6, 0
	s_cbranch_scc1 .LBB1_33
; %bb.32:                               ;   in Loop: Header=BB1_34 Depth=1
	s_sleep 1
	s_cbranch_execnz .LBB1_34
	s_branch .LBB1_36
.LBB1_33:
	s_branch .LBB1_36
.LBB1_34:                               ; =>This Inner Loop Header: Depth=1
	v_mov_b32_e32 v0, 1
	s_and_saveexec_b64 s[6:7], s[0:1]
	s_cbranch_execz .LBB1_31
; %bb.35:                               ;   in Loop: Header=BB1_34 Depth=1
	global_load_dword v0, v[7:8], off offset:20 glc
	s_waitcnt vmcnt(0)
	buffer_wbinvl1_vol
	v_and_b32_e32 v0, 1, v0
	s_branch .LBB1_31
.LBB1_36:
	global_load_dwordx2 v[0:1], v[9:10], off
	s_and_saveexec_b64 s[6:7], s[0:1]
	s_cbranch_execz .LBB1_39
; %bb.37:
	v_mov_b32_e32 v8, 0
	global_load_dwordx2 v[2:3], v8, s[2:3] offset:40
	global_load_dwordx2 v[11:12], v8, s[2:3] offset:24 glc
	global_load_dwordx2 v[4:5], v8, s[2:3]
	s_waitcnt vmcnt(2)
	v_readfirstlane_b32 s8, v2
	v_readfirstlane_b32 s9, v3
	s_add_u32 s10, s8, 1
	s_addc_u32 s11, s9, 0
	s_add_u32 s0, s10, s4
	s_addc_u32 s1, s11, s5
	s_cmp_eq_u64 s[0:1], 0
	s_cselect_b32 s1, s11, s1
	s_cselect_b32 s0, s10, s0
	s_and_b64 s[4:5], s[0:1], s[8:9]
	s_mul_i32 s5, s5, 24
	s_mul_hi_u32 s8, s4, 24
	s_mul_i32 s4, s4, 24
	s_add_i32 s5, s8, s5
	v_mov_b32_e32 v2, s5
	s_waitcnt vmcnt(0)
	v_add_co_u32_e32 v6, vcc, s4, v4
	v_addc_co_u32_e32 v7, vcc, v5, v2, vcc
	v_mov_b32_e32 v9, s0
	global_store_dwordx2 v[6:7], v[11:12], off
	v_mov_b32_e32 v10, s1
	s_waitcnt vmcnt(0)
	global_atomic_cmpswap_x2 v[4:5], v8, v[9:12], s[2:3] offset:24 glc
	s_mov_b64 s[4:5], 0
	s_waitcnt vmcnt(0)
	v_cmp_ne_u64_e32 vcc, v[4:5], v[11:12]
	s_and_b64 exec, exec, vcc
	s_cbranch_execz .LBB1_39
.LBB1_38:                               ; =>This Inner Loop Header: Depth=1
	s_sleep 1
	global_store_dwordx2 v[6:7], v[4:5], off
	v_mov_b32_e32 v2, s0
	v_mov_b32_e32 v3, s1
	s_waitcnt vmcnt(0)
	global_atomic_cmpswap_x2 v[2:3], v8, v[2:5], s[2:3] offset:24 glc
	s_waitcnt vmcnt(0)
	v_cmp_eq_u64_e32 vcc, v[2:3], v[4:5]
	v_mov_b32_e32 v5, v3
	s_or_b64 s[4:5], vcc, s[4:5]
	v_mov_b32_e32 v4, v2
	s_andn2_b64 exec, exec, s[4:5]
	s_cbranch_execnz .LBB1_38
.LBB1_39:
	s_or_b64 exec, exec, s[6:7]
	s_getpc_b64 s[4:5]
	s_add_u32 s4, s4, .str@rel32@lo+4
	s_addc_u32 s5, s5, .str@rel32@hi+12
	s_cmp_lg_u64 s[4:5], 0
	s_cselect_b64 s[0:1], -1, 0
	s_cmp_eq_u64 s[4:5], 0
	s_mov_b64 s[4:5], 0
	s_cbranch_scc1 .LBB1_43
; %bb.40:
	v_mov_b32_e32 v2, 0
	s_getpc_b64 s[4:5]
	s_add_u32 s4, s4, .str@rel32@lo+3
	s_addc_u32 s5, s5, .str@rel32@hi+11
.LBB1_41:                               ; =>This Inner Loop Header: Depth=1
	global_load_ubyte v3, v2, s[4:5] offset:1
	s_add_u32 s6, s4, 1
	s_addc_u32 s7, s5, 0
	s_mov_b64 s[4:5], s[6:7]
	s_waitcnt vmcnt(0)
	v_cmp_ne_u32_e32 vcc, 0, v3
	s_cbranch_vccnz .LBB1_41
; %bb.42:
	s_getpc_b64 s[4:5]
	s_add_u32 s4, s4, .str@rel32@lo+4
	s_addc_u32 s5, s5, .str@rel32@hi+12
	s_sub_u32 s4, s6, s4
	s_subb_u32 s5, s7, s5
	s_add_u32 s4, s4, 1
	s_addc_u32 s5, s5, 0
.LBB1_43:
	s_and_b64 vcc, exec, s[0:1]
	s_cbranch_vccz .LBB1_128
; %bb.44:
	s_waitcnt vmcnt(0)
	v_and_b32_e32 v33, 2, v0
	v_mov_b32_e32 v28, 0
	v_and_b32_e32 v4, -3, v0
	v_mov_b32_e32 v5, v1
	v_mov_b32_e32 v10, 2
	;; [unrolled: 1-line block ×3, first 2 shown]
	s_getpc_b64 s[6:7]
	s_add_u32 s6, s6, .str@rel32@lo+4
	s_addc_u32 s7, s7, .str@rel32@hi+12
	s_branch .LBB1_46
.LBB1_45:                               ;   in Loop: Header=BB1_46 Depth=1
	s_or_b64 exec, exec, s[12:13]
	s_sub_u32 s4, s4, s8
	s_subb_u32 s5, s5, s9
	s_add_u32 s6, s6, s8
	s_addc_u32 s7, s7, s9
	s_cmp_lg_u64 s[4:5], 0
	s_cbranch_scc0 .LBB1_129
.LBB1_46:                               ; =>This Loop Header: Depth=1
                                        ;     Child Loop BB1_49 Depth 2
                                        ;     Child Loop BB1_57 Depth 2
	;; [unrolled: 1-line block ×11, first 2 shown]
	v_cmp_lt_u64_e64 s[0:1], s[4:5], 56
	v_cmp_gt_u64_e64 s[10:11], s[4:5], 7
	s_and_b64 s[0:1], s[0:1], exec
	s_cselect_b32 s9, s5, 0
	s_cselect_b32 s8, s4, 56
	s_add_u32 s0, s6, 8
	s_addc_u32 s1, s7, 0
	s_and_b64 vcc, exec, s[10:11]
	s_cbranch_vccnz .LBB1_50
; %bb.47:                               ;   in Loop: Header=BB1_46 Depth=1
	s_cmp_eq_u64 s[4:5], 0
	s_cbranch_scc1 .LBB1_51
; %bb.48:                               ;   in Loop: Header=BB1_46 Depth=1
	v_mov_b32_e32 v6, 0
	s_lshl_b64 s[0:1], s[8:9], 3
	s_mov_b64 s[10:11], 0
	v_mov_b32_e32 v7, 0
	s_mov_b64 s[12:13], s[6:7]
.LBB1_49:                               ;   Parent Loop BB1_46 Depth=1
                                        ; =>  This Inner Loop Header: Depth=2
	global_load_ubyte v2, v28, s[12:13]
	s_waitcnt vmcnt(0)
	v_and_b32_e32 v27, 0xffff, v2
	v_lshlrev_b64 v[2:3], s10, v[27:28]
	s_add_u32 s10, s10, 8
	s_addc_u32 s11, s11, 0
	s_add_u32 s12, s12, 1
	s_addc_u32 s13, s13, 0
	v_or_b32_e32 v6, v2, v6
	s_cmp_lg_u32 s0, s10
	v_or_b32_e32 v7, v3, v7
	s_cbranch_scc1 .LBB1_49
	s_branch .LBB1_52
.LBB1_50:                               ;   in Loop: Header=BB1_46 Depth=1
	s_mov_b32 s14, 0
	s_branch .LBB1_53
.LBB1_51:                               ;   in Loop: Header=BB1_46 Depth=1
	v_mov_b32_e32 v6, 0
	v_mov_b32_e32 v7, 0
.LBB1_52:                               ;   in Loop: Header=BB1_46 Depth=1
	s_mov_b64 s[0:1], s[6:7]
	s_mov_b32 s14, 0
	s_cbranch_execnz .LBB1_54
.LBB1_53:                               ;   in Loop: Header=BB1_46 Depth=1
	global_load_dwordx2 v[6:7], v28, s[6:7]
	s_add_i32 s14, s8, -8
.LBB1_54:                               ;   in Loop: Header=BB1_46 Depth=1
	s_add_u32 s10, s0, 8
	s_addc_u32 s11, s1, 0
	s_cmp_gt_u32 s14, 7
	s_cbranch_scc1 .LBB1_58
; %bb.55:                               ;   in Loop: Header=BB1_46 Depth=1
	s_cmp_eq_u32 s14, 0
	s_cbranch_scc1 .LBB1_59
; %bb.56:                               ;   in Loop: Header=BB1_46 Depth=1
	v_mov_b32_e32 v12, 0
	s_mov_b64 s[10:11], 0
	v_mov_b32_e32 v13, 0
	s_mov_b64 s[12:13], 0
.LBB1_57:                               ;   Parent Loop BB1_46 Depth=1
                                        ; =>  This Inner Loop Header: Depth=2
	s_add_u32 s16, s0, s12
	s_addc_u32 s17, s1, s13
	global_load_ubyte v2, v28, s[16:17]
	s_add_u32 s12, s12, 1
	s_addc_u32 s13, s13, 0
	s_waitcnt vmcnt(0)
	v_and_b32_e32 v27, 0xffff, v2
	v_lshlrev_b64 v[2:3], s10, v[27:28]
	s_add_u32 s10, s10, 8
	s_addc_u32 s11, s11, 0
	v_or_b32_e32 v12, v2, v12
	s_cmp_lg_u32 s14, s12
	v_or_b32_e32 v13, v3, v13
	s_cbranch_scc1 .LBB1_57
	s_branch .LBB1_60
.LBB1_58:                               ;   in Loop: Header=BB1_46 Depth=1
                                        ; implicit-def: $vgpr12_vgpr13
	s_mov_b32 s15, 0
	s_branch .LBB1_61
.LBB1_59:                               ;   in Loop: Header=BB1_46 Depth=1
	v_mov_b32_e32 v12, 0
	v_mov_b32_e32 v13, 0
.LBB1_60:                               ;   in Loop: Header=BB1_46 Depth=1
	s_mov_b64 s[10:11], s[0:1]
	s_mov_b32 s15, 0
	s_cbranch_execnz .LBB1_62
.LBB1_61:                               ;   in Loop: Header=BB1_46 Depth=1
	global_load_dwordx2 v[12:13], v28, s[0:1]
	s_add_i32 s15, s14, -8
.LBB1_62:                               ;   in Loop: Header=BB1_46 Depth=1
	s_add_u32 s0, s10, 8
	s_addc_u32 s1, s11, 0
	s_cmp_gt_u32 s15, 7
	s_cbranch_scc1 .LBB1_66
; %bb.63:                               ;   in Loop: Header=BB1_46 Depth=1
	s_cmp_eq_u32 s15, 0
	s_cbranch_scc1 .LBB1_67
; %bb.64:                               ;   in Loop: Header=BB1_46 Depth=1
	v_mov_b32_e32 v14, 0
	s_mov_b64 s[0:1], 0
	v_mov_b32_e32 v15, 0
	s_mov_b64 s[12:13], 0
.LBB1_65:                               ;   Parent Loop BB1_46 Depth=1
                                        ; =>  This Inner Loop Header: Depth=2
	s_add_u32 s16, s10, s12
	s_addc_u32 s17, s11, s13
	global_load_ubyte v2, v28, s[16:17]
	s_add_u32 s12, s12, 1
	s_addc_u32 s13, s13, 0
	s_waitcnt vmcnt(0)
	v_and_b32_e32 v27, 0xffff, v2
	v_lshlrev_b64 v[2:3], s0, v[27:28]
	s_add_u32 s0, s0, 8
	s_addc_u32 s1, s1, 0
	v_or_b32_e32 v14, v2, v14
	s_cmp_lg_u32 s15, s12
	v_or_b32_e32 v15, v3, v15
	s_cbranch_scc1 .LBB1_65
	s_branch .LBB1_68
.LBB1_66:                               ;   in Loop: Header=BB1_46 Depth=1
	s_mov_b32 s14, 0
	s_branch .LBB1_69
.LBB1_67:                               ;   in Loop: Header=BB1_46 Depth=1
	v_mov_b32_e32 v14, 0
	v_mov_b32_e32 v15, 0
.LBB1_68:                               ;   in Loop: Header=BB1_46 Depth=1
	s_mov_b64 s[0:1], s[10:11]
	s_mov_b32 s14, 0
	s_cbranch_execnz .LBB1_70
.LBB1_69:                               ;   in Loop: Header=BB1_46 Depth=1
	global_load_dwordx2 v[14:15], v28, s[10:11]
	s_add_i32 s14, s15, -8
.LBB1_70:                               ;   in Loop: Header=BB1_46 Depth=1
	s_add_u32 s10, s0, 8
	s_addc_u32 s11, s1, 0
	s_cmp_gt_u32 s14, 7
	s_cbranch_scc1 .LBB1_74
; %bb.71:                               ;   in Loop: Header=BB1_46 Depth=1
	s_cmp_eq_u32 s14, 0
	s_cbranch_scc1 .LBB1_75
; %bb.72:                               ;   in Loop: Header=BB1_46 Depth=1
	v_mov_b32_e32 v16, 0
	s_mov_b64 s[10:11], 0
	v_mov_b32_e32 v17, 0
	s_mov_b64 s[12:13], 0
.LBB1_73:                               ;   Parent Loop BB1_46 Depth=1
                                        ; =>  This Inner Loop Header: Depth=2
	s_add_u32 s16, s0, s12
	s_addc_u32 s17, s1, s13
	global_load_ubyte v2, v28, s[16:17]
	s_add_u32 s12, s12, 1
	s_addc_u32 s13, s13, 0
	s_waitcnt vmcnt(0)
	v_and_b32_e32 v27, 0xffff, v2
	v_lshlrev_b64 v[2:3], s10, v[27:28]
	s_add_u32 s10, s10, 8
	s_addc_u32 s11, s11, 0
	v_or_b32_e32 v16, v2, v16
	s_cmp_lg_u32 s14, s12
	v_or_b32_e32 v17, v3, v17
	s_cbranch_scc1 .LBB1_73
	s_branch .LBB1_76
.LBB1_74:                               ;   in Loop: Header=BB1_46 Depth=1
                                        ; implicit-def: $vgpr16_vgpr17
	s_mov_b32 s15, 0
	s_branch .LBB1_77
.LBB1_75:                               ;   in Loop: Header=BB1_46 Depth=1
	v_mov_b32_e32 v16, 0
	v_mov_b32_e32 v17, 0
.LBB1_76:                               ;   in Loop: Header=BB1_46 Depth=1
	s_mov_b64 s[10:11], s[0:1]
	s_mov_b32 s15, 0
	s_cbranch_execnz .LBB1_78
.LBB1_77:                               ;   in Loop: Header=BB1_46 Depth=1
	global_load_dwordx2 v[16:17], v28, s[0:1]
	s_add_i32 s15, s14, -8
.LBB1_78:                               ;   in Loop: Header=BB1_46 Depth=1
	s_add_u32 s0, s10, 8
	s_addc_u32 s1, s11, 0
	s_cmp_gt_u32 s15, 7
	s_cbranch_scc1 .LBB1_82
; %bb.79:                               ;   in Loop: Header=BB1_46 Depth=1
	s_cmp_eq_u32 s15, 0
	s_cbranch_scc1 .LBB1_83
; %bb.80:                               ;   in Loop: Header=BB1_46 Depth=1
	v_mov_b32_e32 v18, 0
	s_mov_b64 s[0:1], 0
	v_mov_b32_e32 v19, 0
	s_mov_b64 s[12:13], 0
.LBB1_81:                               ;   Parent Loop BB1_46 Depth=1
                                        ; =>  This Inner Loop Header: Depth=2
	s_add_u32 s16, s10, s12
	s_addc_u32 s17, s11, s13
	global_load_ubyte v2, v28, s[16:17]
	s_add_u32 s12, s12, 1
	s_addc_u32 s13, s13, 0
	s_waitcnt vmcnt(0)
	v_and_b32_e32 v27, 0xffff, v2
	v_lshlrev_b64 v[2:3], s0, v[27:28]
	s_add_u32 s0, s0, 8
	s_addc_u32 s1, s1, 0
	v_or_b32_e32 v18, v2, v18
	s_cmp_lg_u32 s15, s12
	v_or_b32_e32 v19, v3, v19
	s_cbranch_scc1 .LBB1_81
	s_branch .LBB1_84
.LBB1_82:                               ;   in Loop: Header=BB1_46 Depth=1
	s_mov_b32 s14, 0
	s_branch .LBB1_85
.LBB1_83:                               ;   in Loop: Header=BB1_46 Depth=1
	v_mov_b32_e32 v18, 0
	v_mov_b32_e32 v19, 0
.LBB1_84:                               ;   in Loop: Header=BB1_46 Depth=1
	s_mov_b64 s[0:1], s[10:11]
	s_mov_b32 s14, 0
	s_cbranch_execnz .LBB1_86
.LBB1_85:                               ;   in Loop: Header=BB1_46 Depth=1
	global_load_dwordx2 v[18:19], v28, s[10:11]
	s_add_i32 s14, s15, -8
.LBB1_86:                               ;   in Loop: Header=BB1_46 Depth=1
	s_add_u32 s10, s0, 8
	s_addc_u32 s11, s1, 0
	s_cmp_gt_u32 s14, 7
	s_cbranch_scc1 .LBB1_90
; %bb.87:                               ;   in Loop: Header=BB1_46 Depth=1
	s_cmp_eq_u32 s14, 0
	s_cbranch_scc1 .LBB1_91
; %bb.88:                               ;   in Loop: Header=BB1_46 Depth=1
	v_mov_b32_e32 v20, 0
	s_mov_b64 s[10:11], 0
	v_mov_b32_e32 v21, 0
	s_mov_b64 s[12:13], 0
.LBB1_89:                               ;   Parent Loop BB1_46 Depth=1
                                        ; =>  This Inner Loop Header: Depth=2
	s_add_u32 s16, s0, s12
	s_addc_u32 s17, s1, s13
	global_load_ubyte v2, v28, s[16:17]
	s_add_u32 s12, s12, 1
	s_addc_u32 s13, s13, 0
	s_waitcnt vmcnt(0)
	v_and_b32_e32 v27, 0xffff, v2
	v_lshlrev_b64 v[2:3], s10, v[27:28]
	s_add_u32 s10, s10, 8
	s_addc_u32 s11, s11, 0
	v_or_b32_e32 v20, v2, v20
	s_cmp_lg_u32 s14, s12
	v_or_b32_e32 v21, v3, v21
	s_cbranch_scc1 .LBB1_89
	s_branch .LBB1_92
.LBB1_90:                               ;   in Loop: Header=BB1_46 Depth=1
                                        ; implicit-def: $vgpr20_vgpr21
	s_mov_b32 s15, 0
	s_branch .LBB1_93
.LBB1_91:                               ;   in Loop: Header=BB1_46 Depth=1
	v_mov_b32_e32 v20, 0
	v_mov_b32_e32 v21, 0
.LBB1_92:                               ;   in Loop: Header=BB1_46 Depth=1
	s_mov_b64 s[10:11], s[0:1]
	s_mov_b32 s15, 0
	s_cbranch_execnz .LBB1_94
.LBB1_93:                               ;   in Loop: Header=BB1_46 Depth=1
	global_load_dwordx2 v[20:21], v28, s[0:1]
	s_add_i32 s15, s14, -8
.LBB1_94:                               ;   in Loop: Header=BB1_46 Depth=1
	s_cmp_gt_u32 s15, 7
	s_cbranch_scc1 .LBB1_98
; %bb.95:                               ;   in Loop: Header=BB1_46 Depth=1
	s_cmp_eq_u32 s15, 0
	s_cbranch_scc1 .LBB1_99
; %bb.96:                               ;   in Loop: Header=BB1_46 Depth=1
	v_mov_b32_e32 v22, 0
	s_mov_b64 s[0:1], 0
	v_mov_b32_e32 v23, 0
	s_mov_b64 s[12:13], s[10:11]
.LBB1_97:                               ;   Parent Loop BB1_46 Depth=1
                                        ; =>  This Inner Loop Header: Depth=2
	global_load_ubyte v2, v28, s[12:13]
	s_add_i32 s15, s15, -1
	s_waitcnt vmcnt(0)
	v_and_b32_e32 v27, 0xffff, v2
	v_lshlrev_b64 v[2:3], s0, v[27:28]
	s_add_u32 s0, s0, 8
	s_addc_u32 s1, s1, 0
	s_add_u32 s12, s12, 1
	s_addc_u32 s13, s13, 0
	v_or_b32_e32 v22, v2, v22
	s_cmp_lg_u32 s15, 0
	v_or_b32_e32 v23, v3, v23
	s_cbranch_scc1 .LBB1_97
	s_branch .LBB1_100
.LBB1_98:                               ;   in Loop: Header=BB1_46 Depth=1
	s_branch .LBB1_101
.LBB1_99:                               ;   in Loop: Header=BB1_46 Depth=1
	v_mov_b32_e32 v22, 0
	v_mov_b32_e32 v23, 0
.LBB1_100:                              ;   in Loop: Header=BB1_46 Depth=1
	s_cbranch_execnz .LBB1_102
.LBB1_101:                              ;   in Loop: Header=BB1_46 Depth=1
	global_load_dwordx2 v[22:23], v28, s[10:11]
.LBB1_102:                              ;   in Loop: Header=BB1_46 Depth=1
	v_readfirstlane_b32 s0, v32
	v_mov_b32_e32 v2, 0
	v_mov_b32_e32 v3, 0
	v_cmp_eq_u32_e64 s[0:1], s0, v32
	s_and_saveexec_b64 s[10:11], s[0:1]
	s_cbranch_execz .LBB1_108
; %bb.103:                              ;   in Loop: Header=BB1_46 Depth=1
	global_load_dwordx2 v[26:27], v28, s[2:3] offset:24 glc
	s_waitcnt vmcnt(0)
	buffer_wbinvl1_vol
	global_load_dwordx2 v[2:3], v28, s[2:3] offset:40
	global_load_dwordx2 v[8:9], v28, s[2:3]
	s_waitcnt vmcnt(1)
	v_and_b32_e32 v2, v2, v26
	v_and_b32_e32 v3, v3, v27
	v_mul_lo_u32 v3, v3, 24
	v_mul_hi_u32 v24, v2, 24
	v_mul_lo_u32 v2, v2, 24
	v_add_u32_e32 v3, v24, v3
	s_waitcnt vmcnt(0)
	v_add_co_u32_e32 v2, vcc, v8, v2
	v_addc_co_u32_e32 v3, vcc, v9, v3, vcc
	global_load_dwordx2 v[24:25], v[2:3], off glc
	s_waitcnt vmcnt(0)
	global_atomic_cmpswap_x2 v[2:3], v28, v[24:27], s[2:3] offset:24 glc
	s_waitcnt vmcnt(0)
	buffer_wbinvl1_vol
	v_cmp_ne_u64_e32 vcc, v[2:3], v[26:27]
	s_and_saveexec_b64 s[12:13], vcc
	s_cbranch_execz .LBB1_107
; %bb.104:                              ;   in Loop: Header=BB1_46 Depth=1
	s_mov_b64 s[14:15], 0
.LBB1_105:                              ;   Parent Loop BB1_46 Depth=1
                                        ; =>  This Inner Loop Header: Depth=2
	s_sleep 1
	global_load_dwordx2 v[8:9], v28, s[2:3] offset:40
	global_load_dwordx2 v[24:25], v28, s[2:3]
	v_mov_b32_e32 v27, v3
	v_mov_b32_e32 v26, v2
	s_waitcnt vmcnt(1)
	v_and_b32_e32 v2, v8, v26
	s_waitcnt vmcnt(0)
	v_mad_u64_u32 v[2:3], s[16:17], v2, 24, v[24:25]
	v_and_b32_e32 v8, v9, v27
	v_mad_u64_u32 v[8:9], s[16:17], v8, 24, v[3:4]
	v_mov_b32_e32 v3, v8
	global_load_dwordx2 v[24:25], v[2:3], off glc
	s_waitcnt vmcnt(0)
	global_atomic_cmpswap_x2 v[2:3], v28, v[24:27], s[2:3] offset:24 glc
	s_waitcnt vmcnt(0)
	buffer_wbinvl1_vol
	v_cmp_eq_u64_e32 vcc, v[2:3], v[26:27]
	s_or_b64 s[14:15], vcc, s[14:15]
	s_andn2_b64 exec, exec, s[14:15]
	s_cbranch_execnz .LBB1_105
; %bb.106:                              ;   in Loop: Header=BB1_46 Depth=1
	s_or_b64 exec, exec, s[14:15]
.LBB1_107:                              ;   in Loop: Header=BB1_46 Depth=1
	s_or_b64 exec, exec, s[12:13]
.LBB1_108:                              ;   in Loop: Header=BB1_46 Depth=1
	s_or_b64 exec, exec, s[10:11]
	global_load_dwordx2 v[8:9], v28, s[2:3] offset:40
	global_load_dwordx4 v[24:27], v28, s[2:3]
	v_readfirstlane_b32 s11, v3
	v_readfirstlane_b32 s10, v2
	s_mov_b64 s[12:13], exec
	s_waitcnt vmcnt(1)
	v_readfirstlane_b32 s14, v8
	v_readfirstlane_b32 s15, v9
	s_and_b64 s[14:15], s[14:15], s[10:11]
	s_mul_i32 s16, s15, 24
	s_mul_hi_u32 s17, s14, 24
	s_mul_i32 s18, s14, 24
	s_add_i32 s16, s17, s16
	v_mov_b32_e32 v2, s16
	s_waitcnt vmcnt(0)
	v_add_co_u32_e32 v29, vcc, s18, v24
	v_addc_co_u32_e32 v30, vcc, v25, v2, vcc
	s_and_saveexec_b64 s[16:17], s[0:1]
	s_cbranch_execz .LBB1_110
; %bb.109:                              ;   in Loop: Header=BB1_46 Depth=1
	v_mov_b32_e32 v8, s12
	v_mov_b32_e32 v9, s13
	global_store_dwordx4 v[29:30], v[8:11], off offset:8
.LBB1_110:                              ;   in Loop: Header=BB1_46 Depth=1
	s_or_b64 exec, exec, s[16:17]
	s_lshl_b64 s[12:13], s[14:15], 12
	v_mov_b32_e32 v2, s13
	v_add_co_u32_e32 v8, vcc, s12, v26
	v_addc_co_u32_e32 v9, vcc, v27, v2, vcc
	v_cmp_lt_u64_e64 vcc, s[4:5], 57
	s_lshl_b32 s12, s8, 2
	v_cndmask_b32_e32 v2, 0, v33, vcc
	s_add_i32 s12, s12, 28
	v_and_b32_e32 v3, 0xffffff1f, v4
	s_and_b32 s12, s12, 0x1e0
	v_or_b32_e32 v2, v3, v2
	v_or_b32_e32 v4, s12, v2
	v_readfirstlane_b32 s12, v8
	v_readfirstlane_b32 s13, v9
	s_nop 4
	global_store_dwordx4 v31, v[4:7], s[12:13]
	global_store_dwordx4 v31, v[12:15], s[12:13] offset:16
	global_store_dwordx4 v31, v[16:19], s[12:13] offset:32
	;; [unrolled: 1-line block ×3, first 2 shown]
	s_and_saveexec_b64 s[12:13], s[0:1]
	s_cbranch_execz .LBB1_118
; %bb.111:                              ;   in Loop: Header=BB1_46 Depth=1
	global_load_dwordx2 v[14:15], v28, s[2:3] offset:32 glc
	global_load_dwordx2 v[2:3], v28, s[2:3] offset:40
	v_mov_b32_e32 v12, s10
	v_mov_b32_e32 v13, s11
	s_waitcnt vmcnt(0)
	v_readfirstlane_b32 s14, v2
	v_readfirstlane_b32 s15, v3
	s_and_b64 s[14:15], s[14:15], s[10:11]
	s_mul_i32 s15, s15, 24
	s_mul_hi_u32 s16, s14, 24
	s_mul_i32 s14, s14, 24
	s_add_i32 s15, s16, s15
	v_mov_b32_e32 v2, s15
	v_add_co_u32_e32 v6, vcc, s14, v24
	v_addc_co_u32_e32 v7, vcc, v25, v2, vcc
	global_store_dwordx2 v[6:7], v[14:15], off
	s_waitcnt vmcnt(0)
	global_atomic_cmpswap_x2 v[4:5], v28, v[12:15], s[2:3] offset:32 glc
	s_waitcnt vmcnt(0)
	v_cmp_ne_u64_e32 vcc, v[4:5], v[14:15]
	s_and_saveexec_b64 s[14:15], vcc
	s_cbranch_execz .LBB1_114
; %bb.112:                              ;   in Loop: Header=BB1_46 Depth=1
	s_mov_b64 s[16:17], 0
.LBB1_113:                              ;   Parent Loop BB1_46 Depth=1
                                        ; =>  This Inner Loop Header: Depth=2
	s_sleep 1
	global_store_dwordx2 v[6:7], v[4:5], off
	v_mov_b32_e32 v2, s10
	v_mov_b32_e32 v3, s11
	s_waitcnt vmcnt(0)
	global_atomic_cmpswap_x2 v[2:3], v28, v[2:5], s[2:3] offset:32 glc
	s_waitcnt vmcnt(0)
	v_cmp_eq_u64_e32 vcc, v[2:3], v[4:5]
	v_mov_b32_e32 v5, v3
	s_or_b64 s[16:17], vcc, s[16:17]
	v_mov_b32_e32 v4, v2
	s_andn2_b64 exec, exec, s[16:17]
	s_cbranch_execnz .LBB1_113
.LBB1_114:                              ;   in Loop: Header=BB1_46 Depth=1
	s_or_b64 exec, exec, s[14:15]
	global_load_dwordx2 v[2:3], v28, s[2:3] offset:16
	s_mov_b64 s[16:17], exec
	v_mbcnt_lo_u32_b32 v4, s16, 0
	v_mbcnt_hi_u32_b32 v4, s17, v4
	v_cmp_eq_u32_e32 vcc, 0, v4
	s_and_saveexec_b64 s[14:15], vcc
	s_cbranch_execz .LBB1_116
; %bb.115:                              ;   in Loop: Header=BB1_46 Depth=1
	s_bcnt1_i32_b64 s16, s[16:17]
	v_mov_b32_e32 v27, s16
	s_waitcnt vmcnt(0)
	global_atomic_add_x2 v[2:3], v[27:28], off offset:8
.LBB1_116:                              ;   in Loop: Header=BB1_46 Depth=1
	s_or_b64 exec, exec, s[14:15]
	s_waitcnt vmcnt(0)
	global_load_dwordx2 v[4:5], v[2:3], off offset:16
	s_waitcnt vmcnt(0)
	v_cmp_eq_u64_e32 vcc, 0, v[4:5]
	s_cbranch_vccnz .LBB1_118
; %bb.117:                              ;   in Loop: Header=BB1_46 Depth=1
	global_load_dword v27, v[2:3], off offset:24
	s_waitcnt vmcnt(0)
	v_readfirstlane_b32 s14, v27
	s_and_b32 m0, s14, 0xffffff
	global_store_dwordx2 v[4:5], v[27:28], off
	s_sendmsg sendmsg(MSG_INTERRUPT)
.LBB1_118:                              ;   in Loop: Header=BB1_46 Depth=1
	s_or_b64 exec, exec, s[12:13]
	v_add_co_u32_e32 v2, vcc, v8, v31
	v_addc_co_u32_e32 v3, vcc, 0, v9, vcc
	s_branch .LBB1_122
.LBB1_119:                              ;   in Loop: Header=BB1_122 Depth=2
	s_or_b64 exec, exec, s[12:13]
	v_readfirstlane_b32 s12, v4
	s_cmp_eq_u32 s12, 0
	s_cbranch_scc1 .LBB1_121
; %bb.120:                              ;   in Loop: Header=BB1_122 Depth=2
	s_sleep 1
	s_cbranch_execnz .LBB1_122
	s_branch .LBB1_124
.LBB1_121:                              ;   in Loop: Header=BB1_46 Depth=1
	s_branch .LBB1_124
.LBB1_122:                              ;   Parent Loop BB1_46 Depth=1
                                        ; =>  This Inner Loop Header: Depth=2
	v_mov_b32_e32 v4, 1
	s_and_saveexec_b64 s[12:13], s[0:1]
	s_cbranch_execz .LBB1_119
; %bb.123:                              ;   in Loop: Header=BB1_122 Depth=2
	global_load_dword v4, v[29:30], off offset:20 glc
	s_waitcnt vmcnt(0)
	buffer_wbinvl1_vol
	v_and_b32_e32 v4, 1, v4
	s_branch .LBB1_119
.LBB1_124:                              ;   in Loop: Header=BB1_46 Depth=1
	global_load_dwordx2 v[4:5], v[2:3], off
	s_and_saveexec_b64 s[12:13], s[0:1]
	s_cbranch_execz .LBB1_45
; %bb.125:                              ;   in Loop: Header=BB1_46 Depth=1
	global_load_dwordx2 v[2:3], v28, s[2:3] offset:40
	global_load_dwordx2 v[14:15], v28, s[2:3] offset:24 glc
	global_load_dwordx2 v[6:7], v28, s[2:3]
	s_waitcnt vmcnt(2)
	v_readfirstlane_b32 s14, v2
	v_readfirstlane_b32 s15, v3
	s_add_u32 s16, s14, 1
	s_addc_u32 s17, s15, 0
	s_add_u32 s0, s16, s10
	s_addc_u32 s1, s17, s11
	s_cmp_eq_u64 s[0:1], 0
	s_cselect_b32 s1, s17, s1
	s_cselect_b32 s0, s16, s0
	s_and_b64 s[10:11], s[0:1], s[14:15]
	s_mul_i32 s11, s11, 24
	s_mul_hi_u32 s14, s10, 24
	s_mul_i32 s10, s10, 24
	s_add_i32 s11, s14, s11
	v_mov_b32_e32 v3, s11
	s_waitcnt vmcnt(0)
	v_add_co_u32_e32 v2, vcc, s10, v6
	v_addc_co_u32_e32 v3, vcc, v7, v3, vcc
	v_mov_b32_e32 v12, s0
	global_store_dwordx2 v[2:3], v[14:15], off
	v_mov_b32_e32 v13, s1
	s_waitcnt vmcnt(0)
	global_atomic_cmpswap_x2 v[8:9], v28, v[12:15], s[2:3] offset:24 glc
	s_waitcnt vmcnt(0)
	v_cmp_ne_u64_e32 vcc, v[8:9], v[14:15]
	s_and_b64 exec, exec, vcc
	s_cbranch_execz .LBB1_45
; %bb.126:                              ;   in Loop: Header=BB1_46 Depth=1
	s_mov_b64 s[10:11], 0
.LBB1_127:                              ;   Parent Loop BB1_46 Depth=1
                                        ; =>  This Inner Loop Header: Depth=2
	s_sleep 1
	global_store_dwordx2 v[2:3], v[8:9], off
	v_mov_b32_e32 v6, s0
	v_mov_b32_e32 v7, s1
	s_waitcnt vmcnt(0)
	global_atomic_cmpswap_x2 v[6:7], v28, v[6:9], s[2:3] offset:24 glc
	s_waitcnt vmcnt(0)
	v_cmp_eq_u64_e32 vcc, v[6:7], v[8:9]
	v_mov_b32_e32 v9, v7
	s_or_b64 s[10:11], vcc, s[10:11]
	v_mov_b32_e32 v8, v6
	s_andn2_b64 exec, exec, s[10:11]
	s_cbranch_execnz .LBB1_127
	s_branch .LBB1_45
.LBB1_128:
	s_mov_b64 s[0:1], -1
                                        ; implicit-def: $vgpr4_vgpr5
	s_branch .LBB1_130
.LBB1_129:
	s_mov_b64 s[0:1], 0
.LBB1_130:
	s_and_b64 vcc, exec, s[0:1]
	s_cbranch_vccz .LBB1_157
; %bb.131:
	v_readfirstlane_b32 s0, v32
	v_mov_b32_e32 v8, 0
	v_mov_b32_e32 v9, 0
	v_cmp_eq_u32_e64 s[0:1], s0, v32
	s_and_saveexec_b64 s[4:5], s[0:1]
	s_cbranch_execz .LBB1_137
; %bb.132:
	v_mov_b32_e32 v2, 0
	global_load_dwordx2 v[5:6], v2, s[2:3] offset:24 glc
	s_waitcnt vmcnt(0)
	buffer_wbinvl1_vol
	global_load_dwordx2 v[3:4], v2, s[2:3] offset:40
	global_load_dwordx2 v[7:8], v2, s[2:3]
	s_waitcnt vmcnt(1)
	v_and_b32_e32 v3, v3, v5
	v_and_b32_e32 v4, v4, v6
	v_mul_lo_u32 v4, v4, 24
	v_mul_hi_u32 v9, v3, 24
	v_mul_lo_u32 v3, v3, 24
	v_add_u32_e32 v4, v9, v4
	s_waitcnt vmcnt(0)
	v_add_co_u32_e32 v3, vcc, v7, v3
	v_addc_co_u32_e32 v4, vcc, v8, v4, vcc
	global_load_dwordx2 v[3:4], v[3:4], off glc
	s_waitcnt vmcnt(0)
	global_atomic_cmpswap_x2 v[8:9], v2, v[3:6], s[2:3] offset:24 glc
	s_waitcnt vmcnt(0)
	buffer_wbinvl1_vol
	v_cmp_ne_u64_e32 vcc, v[8:9], v[5:6]
	s_and_saveexec_b64 s[6:7], vcc
	s_cbranch_execz .LBB1_136
; %bb.133:
	s_mov_b64 s[8:9], 0
.LBB1_134:                              ; =>This Inner Loop Header: Depth=1
	s_sleep 1
	global_load_dwordx2 v[3:4], v2, s[2:3] offset:40
	global_load_dwordx2 v[10:11], v2, s[2:3]
	v_mov_b32_e32 v5, v8
	v_mov_b32_e32 v6, v9
	s_waitcnt vmcnt(1)
	v_and_b32_e32 v3, v3, v5
	s_waitcnt vmcnt(0)
	v_mad_u64_u32 v[7:8], s[10:11], v3, 24, v[10:11]
	v_and_b32_e32 v4, v4, v6
	v_mov_b32_e32 v3, v8
	v_mad_u64_u32 v[3:4], s[10:11], v4, 24, v[3:4]
	v_mov_b32_e32 v8, v3
	global_load_dwordx2 v[3:4], v[7:8], off glc
	s_waitcnt vmcnt(0)
	global_atomic_cmpswap_x2 v[8:9], v2, v[3:6], s[2:3] offset:24 glc
	s_waitcnt vmcnt(0)
	buffer_wbinvl1_vol
	v_cmp_eq_u64_e32 vcc, v[8:9], v[5:6]
	s_or_b64 s[8:9], vcc, s[8:9]
	s_andn2_b64 exec, exec, s[8:9]
	s_cbranch_execnz .LBB1_134
; %bb.135:
	s_or_b64 exec, exec, s[8:9]
.LBB1_136:
	s_or_b64 exec, exec, s[6:7]
.LBB1_137:
	s_or_b64 exec, exec, s[4:5]
	v_mov_b32_e32 v2, 0
	global_load_dwordx2 v[10:11], v2, s[2:3] offset:40
	global_load_dwordx4 v[4:7], v2, s[2:3]
	v_readfirstlane_b32 s5, v9
	v_readfirstlane_b32 s4, v8
	s_mov_b64 s[6:7], exec
	s_waitcnt vmcnt(1)
	v_readfirstlane_b32 s8, v10
	v_readfirstlane_b32 s9, v11
	s_and_b64 s[8:9], s[8:9], s[4:5]
	s_mul_i32 s10, s9, 24
	s_mul_hi_u32 s11, s8, 24
	s_mul_i32 s12, s8, 24
	s_add_i32 s10, s11, s10
	v_mov_b32_e32 v3, s10
	s_waitcnt vmcnt(0)
	v_add_co_u32_e32 v8, vcc, s12, v4
	v_addc_co_u32_e32 v9, vcc, v5, v3, vcc
	s_and_saveexec_b64 s[10:11], s[0:1]
	s_cbranch_execz .LBB1_139
; %bb.138:
	v_mov_b32_e32 v11, s7
	v_mov_b32_e32 v10, s6
	;; [unrolled: 1-line block ×4, first 2 shown]
	global_store_dwordx4 v[8:9], v[10:13], off offset:8
.LBB1_139:
	s_or_b64 exec, exec, s[10:11]
	s_lshl_b64 s[6:7], s[8:9], 12
	v_mov_b32_e32 v3, s7
	v_add_co_u32_e32 v10, vcc, s6, v6
	v_addc_co_u32_e32 v11, vcc, v7, v3, vcc
	s_movk_i32 s6, 0xff1f
	v_and_or_b32 v0, v0, s6, 32
	s_mov_b32 s8, 0
	v_mov_b32_e32 v3, v2
	v_readfirstlane_b32 s6, v10
	v_readfirstlane_b32 s7, v11
	v_add_co_u32_e32 v6, vcc, v10, v31
	s_mov_b32 s9, s8
	s_mov_b32 s10, s8
	;; [unrolled: 1-line block ×3, first 2 shown]
	s_nop 0
	global_store_dwordx4 v31, v[0:3], s[6:7]
	v_addc_co_u32_e32 v7, vcc, 0, v11, vcc
	v_mov_b32_e32 v0, s8
	v_mov_b32_e32 v1, s9
	;; [unrolled: 1-line block ×4, first 2 shown]
	global_store_dwordx4 v31, v[0:3], s[6:7] offset:16
	global_store_dwordx4 v31, v[0:3], s[6:7] offset:32
	;; [unrolled: 1-line block ×3, first 2 shown]
	s_and_saveexec_b64 s[6:7], s[0:1]
	s_cbranch_execz .LBB1_147
; %bb.140:
	v_mov_b32_e32 v10, 0
	global_load_dwordx2 v[13:14], v10, s[2:3] offset:32 glc
	global_load_dwordx2 v[0:1], v10, s[2:3] offset:40
	v_mov_b32_e32 v11, s4
	v_mov_b32_e32 v12, s5
	s_waitcnt vmcnt(0)
	v_readfirstlane_b32 s8, v0
	v_readfirstlane_b32 s9, v1
	s_and_b64 s[8:9], s[8:9], s[4:5]
	s_mul_i32 s9, s9, 24
	s_mul_hi_u32 s10, s8, 24
	s_mul_i32 s8, s8, 24
	s_add_i32 s9, s10, s9
	v_mov_b32_e32 v0, s9
	v_add_co_u32_e32 v4, vcc, s8, v4
	v_addc_co_u32_e32 v5, vcc, v5, v0, vcc
	global_store_dwordx2 v[4:5], v[13:14], off
	s_waitcnt vmcnt(0)
	global_atomic_cmpswap_x2 v[2:3], v10, v[11:14], s[2:3] offset:32 glc
	s_waitcnt vmcnt(0)
	v_cmp_ne_u64_e32 vcc, v[2:3], v[13:14]
	s_and_saveexec_b64 s[8:9], vcc
	s_cbranch_execz .LBB1_143
; %bb.141:
	s_mov_b64 s[10:11], 0
.LBB1_142:                              ; =>This Inner Loop Header: Depth=1
	s_sleep 1
	global_store_dwordx2 v[4:5], v[2:3], off
	v_mov_b32_e32 v0, s4
	v_mov_b32_e32 v1, s5
	s_waitcnt vmcnt(0)
	global_atomic_cmpswap_x2 v[0:1], v10, v[0:3], s[2:3] offset:32 glc
	s_waitcnt vmcnt(0)
	v_cmp_eq_u64_e32 vcc, v[0:1], v[2:3]
	v_mov_b32_e32 v3, v1
	s_or_b64 s[10:11], vcc, s[10:11]
	v_mov_b32_e32 v2, v0
	s_andn2_b64 exec, exec, s[10:11]
	s_cbranch_execnz .LBB1_142
.LBB1_143:
	s_or_b64 exec, exec, s[8:9]
	v_mov_b32_e32 v3, 0
	global_load_dwordx2 v[0:1], v3, s[2:3] offset:16
	s_mov_b64 s[8:9], exec
	v_mbcnt_lo_u32_b32 v2, s8, 0
	v_mbcnt_hi_u32_b32 v2, s9, v2
	v_cmp_eq_u32_e32 vcc, 0, v2
	s_and_saveexec_b64 s[10:11], vcc
	s_cbranch_execz .LBB1_145
; %bb.144:
	s_bcnt1_i32_b64 s8, s[8:9]
	v_mov_b32_e32 v2, s8
	s_waitcnt vmcnt(0)
	global_atomic_add_x2 v[0:1], v[2:3], off offset:8
.LBB1_145:
	s_or_b64 exec, exec, s[10:11]
	s_waitcnt vmcnt(0)
	global_load_dwordx2 v[2:3], v[0:1], off offset:16
	s_waitcnt vmcnt(0)
	v_cmp_eq_u64_e32 vcc, 0, v[2:3]
	s_cbranch_vccnz .LBB1_147
; %bb.146:
	global_load_dword v0, v[0:1], off offset:24
	v_mov_b32_e32 v1, 0
	s_waitcnt vmcnt(0)
	v_readfirstlane_b32 s8, v0
	s_and_b32 m0, s8, 0xffffff
	global_store_dwordx2 v[2:3], v[0:1], off
	s_sendmsg sendmsg(MSG_INTERRUPT)
.LBB1_147:
	s_or_b64 exec, exec, s[6:7]
	s_branch .LBB1_151
.LBB1_148:                              ;   in Loop: Header=BB1_151 Depth=1
	s_or_b64 exec, exec, s[6:7]
	v_readfirstlane_b32 s6, v0
	s_cmp_eq_u32 s6, 0
	s_cbranch_scc1 .LBB1_150
; %bb.149:                              ;   in Loop: Header=BB1_151 Depth=1
	s_sleep 1
	s_cbranch_execnz .LBB1_151
	s_branch .LBB1_153
.LBB1_150:
	s_branch .LBB1_153
.LBB1_151:                              ; =>This Inner Loop Header: Depth=1
	v_mov_b32_e32 v0, 1
	s_and_saveexec_b64 s[6:7], s[0:1]
	s_cbranch_execz .LBB1_148
; %bb.152:                              ;   in Loop: Header=BB1_151 Depth=1
	global_load_dword v0, v[8:9], off offset:20 glc
	s_waitcnt vmcnt(0)
	buffer_wbinvl1_vol
	v_and_b32_e32 v0, 1, v0
	s_branch .LBB1_148
.LBB1_153:
	global_load_dwordx2 v[4:5], v[6:7], off
	s_and_saveexec_b64 s[6:7], s[0:1]
	s_cbranch_execz .LBB1_156
; %bb.154:
	v_mov_b32_e32 v8, 0
	global_load_dwordx2 v[0:1], v8, s[2:3] offset:40
	global_load_dwordx2 v[11:12], v8, s[2:3] offset:24 glc
	global_load_dwordx2 v[2:3], v8, s[2:3]
	s_waitcnt vmcnt(2)
	v_readfirstlane_b32 s8, v0
	v_readfirstlane_b32 s9, v1
	s_add_u32 s10, s8, 1
	s_addc_u32 s11, s9, 0
	s_add_u32 s0, s10, s4
	s_addc_u32 s1, s11, s5
	s_cmp_eq_u64 s[0:1], 0
	s_cselect_b32 s1, s11, s1
	s_cselect_b32 s0, s10, s0
	s_and_b64 s[4:5], s[0:1], s[8:9]
	s_mul_i32 s5, s5, 24
	s_mul_hi_u32 s8, s4, 24
	s_mul_i32 s4, s4, 24
	s_add_i32 s5, s8, s5
	v_mov_b32_e32 v0, s5
	s_waitcnt vmcnt(0)
	v_add_co_u32_e32 v6, vcc, s4, v2
	v_addc_co_u32_e32 v7, vcc, v3, v0, vcc
	v_mov_b32_e32 v9, s0
	global_store_dwordx2 v[6:7], v[11:12], off
	v_mov_b32_e32 v10, s1
	s_waitcnt vmcnt(0)
	global_atomic_cmpswap_x2 v[2:3], v8, v[9:12], s[2:3] offset:24 glc
	s_mov_b64 s[4:5], 0
	s_waitcnt vmcnt(0)
	v_cmp_ne_u64_e32 vcc, v[2:3], v[11:12]
	s_and_b64 exec, exec, vcc
	s_cbranch_execz .LBB1_156
.LBB1_155:                              ; =>This Inner Loop Header: Depth=1
	s_sleep 1
	global_store_dwordx2 v[6:7], v[2:3], off
	v_mov_b32_e32 v0, s0
	v_mov_b32_e32 v1, s1
	s_waitcnt vmcnt(0)
	global_atomic_cmpswap_x2 v[0:1], v8, v[0:3], s[2:3] offset:24 glc
	s_waitcnt vmcnt(0)
	v_cmp_eq_u64_e32 vcc, v[0:1], v[2:3]
	v_mov_b32_e32 v3, v1
	s_or_b64 s[4:5], vcc, s[4:5]
	v_mov_b32_e32 v2, v0
	s_andn2_b64 exec, exec, s[4:5]
	s_cbranch_execnz .LBB1_155
.LBB1_156:
	s_or_b64 exec, exec, s[6:7]
.LBB1_157:
	s_getpc_b64 s[4:5]
	s_add_u32 s4, s4, .str.1@rel32@lo+4
	s_addc_u32 s5, s5, .str.1@rel32@hi+12
	s_cmp_lg_u64 s[4:5], 0
	s_cbranch_scc0 .LBB1_242
; %bb.158:
	s_waitcnt vmcnt(0)
	v_and_b32_e32 v29, 2, v4
	v_mov_b32_e32 v26, 0
	v_and_b32_e32 v0, -3, v4
	v_mov_b32_e32 v1, v5
	s_mov_b64 s[6:7], 0x61
	v_mov_b32_e32 v8, 2
	v_mov_b32_e32 v9, 1
	s_branch .LBB1_160
.LBB1_159:                              ;   in Loop: Header=BB1_160 Depth=1
	s_or_b64 exec, exec, s[12:13]
	s_sub_u32 s6, s6, s8
	s_subb_u32 s7, s7, s9
	s_add_u32 s4, s4, s8
	s_addc_u32 s5, s5, s9
	s_cmp_lg_u64 s[6:7], 0
	s_cbranch_scc0 .LBB1_243
.LBB1_160:                              ; =>This Loop Header: Depth=1
                                        ;     Child Loop BB1_163 Depth 2
                                        ;     Child Loop BB1_171 Depth 2
	;; [unrolled: 1-line block ×11, first 2 shown]
	v_cmp_lt_u64_e64 s[0:1], s[6:7], 56
	v_cmp_gt_u64_e64 s[10:11], s[6:7], 7
	s_and_b64 s[0:1], s[0:1], exec
	s_cselect_b32 s9, s7, 0
	s_cselect_b32 s8, s6, 56
	s_add_u32 s0, s4, 8
	s_addc_u32 s1, s5, 0
	s_and_b64 vcc, exec, s[10:11]
	s_cbranch_vccnz .LBB1_164
; %bb.161:                              ;   in Loop: Header=BB1_160 Depth=1
	s_cmp_eq_u64 s[6:7], 0
	s_cbranch_scc1 .LBB1_165
; %bb.162:                              ;   in Loop: Header=BB1_160 Depth=1
	v_mov_b32_e32 v2, 0
	s_lshl_b64 s[0:1], s[8:9], 3
	s_mov_b64 s[10:11], 0
	v_mov_b32_e32 v3, 0
	s_mov_b64 s[12:13], s[4:5]
.LBB1_163:                              ;   Parent Loop BB1_160 Depth=1
                                        ; =>  This Inner Loop Header: Depth=2
	global_load_ubyte v6, v26, s[12:13]
	s_waitcnt vmcnt(0)
	v_and_b32_e32 v25, 0xffff, v6
	v_lshlrev_b64 v[6:7], s10, v[25:26]
	s_add_u32 s10, s10, 8
	s_addc_u32 s11, s11, 0
	s_add_u32 s12, s12, 1
	s_addc_u32 s13, s13, 0
	v_or_b32_e32 v2, v6, v2
	s_cmp_lg_u32 s0, s10
	v_or_b32_e32 v3, v7, v3
	s_cbranch_scc1 .LBB1_163
	s_branch .LBB1_166
.LBB1_164:                              ;   in Loop: Header=BB1_160 Depth=1
	s_mov_b32 s14, 0
	s_branch .LBB1_167
.LBB1_165:                              ;   in Loop: Header=BB1_160 Depth=1
	v_mov_b32_e32 v2, 0
	v_mov_b32_e32 v3, 0
.LBB1_166:                              ;   in Loop: Header=BB1_160 Depth=1
	s_mov_b64 s[0:1], s[4:5]
	s_mov_b32 s14, 0
	s_cbranch_execnz .LBB1_168
.LBB1_167:                              ;   in Loop: Header=BB1_160 Depth=1
	global_load_dwordx2 v[2:3], v26, s[4:5]
	s_add_i32 s14, s8, -8
.LBB1_168:                              ;   in Loop: Header=BB1_160 Depth=1
	s_add_u32 s10, s0, 8
	s_addc_u32 s11, s1, 0
	s_cmp_gt_u32 s14, 7
	s_cbranch_scc1 .LBB1_172
; %bb.169:                              ;   in Loop: Header=BB1_160 Depth=1
	s_cmp_eq_u32 s14, 0
	s_cbranch_scc1 .LBB1_173
; %bb.170:                              ;   in Loop: Header=BB1_160 Depth=1
	v_mov_b32_e32 v10, 0
	s_mov_b64 s[10:11], 0
	v_mov_b32_e32 v11, 0
	s_mov_b64 s[12:13], 0
.LBB1_171:                              ;   Parent Loop BB1_160 Depth=1
                                        ; =>  This Inner Loop Header: Depth=2
	s_add_u32 s16, s0, s12
	s_addc_u32 s17, s1, s13
	global_load_ubyte v6, v26, s[16:17]
	s_add_u32 s12, s12, 1
	s_addc_u32 s13, s13, 0
	s_waitcnt vmcnt(0)
	v_and_b32_e32 v25, 0xffff, v6
	v_lshlrev_b64 v[6:7], s10, v[25:26]
	s_add_u32 s10, s10, 8
	s_addc_u32 s11, s11, 0
	v_or_b32_e32 v10, v6, v10
	s_cmp_lg_u32 s14, s12
	v_or_b32_e32 v11, v7, v11
	s_cbranch_scc1 .LBB1_171
	s_branch .LBB1_174
.LBB1_172:                              ;   in Loop: Header=BB1_160 Depth=1
                                        ; implicit-def: $vgpr10_vgpr11
	s_mov_b32 s15, 0
	s_branch .LBB1_175
.LBB1_173:                              ;   in Loop: Header=BB1_160 Depth=1
	v_mov_b32_e32 v10, 0
	v_mov_b32_e32 v11, 0
.LBB1_174:                              ;   in Loop: Header=BB1_160 Depth=1
	s_mov_b64 s[10:11], s[0:1]
	s_mov_b32 s15, 0
	s_cbranch_execnz .LBB1_176
.LBB1_175:                              ;   in Loop: Header=BB1_160 Depth=1
	global_load_dwordx2 v[10:11], v26, s[0:1]
	s_add_i32 s15, s14, -8
.LBB1_176:                              ;   in Loop: Header=BB1_160 Depth=1
	s_add_u32 s0, s10, 8
	s_addc_u32 s1, s11, 0
	s_cmp_gt_u32 s15, 7
	s_cbranch_scc1 .LBB1_180
; %bb.177:                              ;   in Loop: Header=BB1_160 Depth=1
	s_cmp_eq_u32 s15, 0
	s_cbranch_scc1 .LBB1_181
; %bb.178:                              ;   in Loop: Header=BB1_160 Depth=1
	v_mov_b32_e32 v12, 0
	s_mov_b64 s[0:1], 0
	v_mov_b32_e32 v13, 0
	s_mov_b64 s[12:13], 0
.LBB1_179:                              ;   Parent Loop BB1_160 Depth=1
                                        ; =>  This Inner Loop Header: Depth=2
	s_add_u32 s16, s10, s12
	s_addc_u32 s17, s11, s13
	global_load_ubyte v6, v26, s[16:17]
	s_add_u32 s12, s12, 1
	s_addc_u32 s13, s13, 0
	s_waitcnt vmcnt(0)
	v_and_b32_e32 v25, 0xffff, v6
	v_lshlrev_b64 v[6:7], s0, v[25:26]
	s_add_u32 s0, s0, 8
	s_addc_u32 s1, s1, 0
	v_or_b32_e32 v12, v6, v12
	s_cmp_lg_u32 s15, s12
	v_or_b32_e32 v13, v7, v13
	s_cbranch_scc1 .LBB1_179
	s_branch .LBB1_182
.LBB1_180:                              ;   in Loop: Header=BB1_160 Depth=1
	s_mov_b32 s14, 0
	s_branch .LBB1_183
.LBB1_181:                              ;   in Loop: Header=BB1_160 Depth=1
	v_mov_b32_e32 v12, 0
	v_mov_b32_e32 v13, 0
.LBB1_182:                              ;   in Loop: Header=BB1_160 Depth=1
	s_mov_b64 s[0:1], s[10:11]
	s_mov_b32 s14, 0
	s_cbranch_execnz .LBB1_184
.LBB1_183:                              ;   in Loop: Header=BB1_160 Depth=1
	global_load_dwordx2 v[12:13], v26, s[10:11]
	s_add_i32 s14, s15, -8
.LBB1_184:                              ;   in Loop: Header=BB1_160 Depth=1
	s_add_u32 s10, s0, 8
	s_addc_u32 s11, s1, 0
	s_cmp_gt_u32 s14, 7
	s_cbranch_scc1 .LBB1_188
; %bb.185:                              ;   in Loop: Header=BB1_160 Depth=1
	s_cmp_eq_u32 s14, 0
	s_cbranch_scc1 .LBB1_189
; %bb.186:                              ;   in Loop: Header=BB1_160 Depth=1
	v_mov_b32_e32 v14, 0
	s_mov_b64 s[10:11], 0
	v_mov_b32_e32 v15, 0
	s_mov_b64 s[12:13], 0
.LBB1_187:                              ;   Parent Loop BB1_160 Depth=1
                                        ; =>  This Inner Loop Header: Depth=2
	s_add_u32 s16, s0, s12
	s_addc_u32 s17, s1, s13
	global_load_ubyte v6, v26, s[16:17]
	s_add_u32 s12, s12, 1
	s_addc_u32 s13, s13, 0
	s_waitcnt vmcnt(0)
	v_and_b32_e32 v25, 0xffff, v6
	v_lshlrev_b64 v[6:7], s10, v[25:26]
	s_add_u32 s10, s10, 8
	s_addc_u32 s11, s11, 0
	v_or_b32_e32 v14, v6, v14
	s_cmp_lg_u32 s14, s12
	v_or_b32_e32 v15, v7, v15
	s_cbranch_scc1 .LBB1_187
	s_branch .LBB1_190
.LBB1_188:                              ;   in Loop: Header=BB1_160 Depth=1
                                        ; implicit-def: $vgpr14_vgpr15
	s_mov_b32 s15, 0
	s_branch .LBB1_191
.LBB1_189:                              ;   in Loop: Header=BB1_160 Depth=1
	v_mov_b32_e32 v14, 0
	v_mov_b32_e32 v15, 0
.LBB1_190:                              ;   in Loop: Header=BB1_160 Depth=1
	s_mov_b64 s[10:11], s[0:1]
	s_mov_b32 s15, 0
	s_cbranch_execnz .LBB1_192
.LBB1_191:                              ;   in Loop: Header=BB1_160 Depth=1
	global_load_dwordx2 v[14:15], v26, s[0:1]
	s_add_i32 s15, s14, -8
.LBB1_192:                              ;   in Loop: Header=BB1_160 Depth=1
	s_add_u32 s0, s10, 8
	s_addc_u32 s1, s11, 0
	s_cmp_gt_u32 s15, 7
	s_cbranch_scc1 .LBB1_196
; %bb.193:                              ;   in Loop: Header=BB1_160 Depth=1
	s_cmp_eq_u32 s15, 0
	s_cbranch_scc1 .LBB1_197
; %bb.194:                              ;   in Loop: Header=BB1_160 Depth=1
	v_mov_b32_e32 v16, 0
	s_mov_b64 s[0:1], 0
	v_mov_b32_e32 v17, 0
	s_mov_b64 s[12:13], 0
.LBB1_195:                              ;   Parent Loop BB1_160 Depth=1
                                        ; =>  This Inner Loop Header: Depth=2
	s_add_u32 s16, s10, s12
	s_addc_u32 s17, s11, s13
	global_load_ubyte v6, v26, s[16:17]
	s_add_u32 s12, s12, 1
	s_addc_u32 s13, s13, 0
	s_waitcnt vmcnt(0)
	v_and_b32_e32 v25, 0xffff, v6
	v_lshlrev_b64 v[6:7], s0, v[25:26]
	s_add_u32 s0, s0, 8
	s_addc_u32 s1, s1, 0
	v_or_b32_e32 v16, v6, v16
	s_cmp_lg_u32 s15, s12
	v_or_b32_e32 v17, v7, v17
	s_cbranch_scc1 .LBB1_195
	s_branch .LBB1_198
.LBB1_196:                              ;   in Loop: Header=BB1_160 Depth=1
	s_mov_b32 s14, 0
	s_branch .LBB1_199
.LBB1_197:                              ;   in Loop: Header=BB1_160 Depth=1
	v_mov_b32_e32 v16, 0
	v_mov_b32_e32 v17, 0
.LBB1_198:                              ;   in Loop: Header=BB1_160 Depth=1
	s_mov_b64 s[0:1], s[10:11]
	s_mov_b32 s14, 0
	s_cbranch_execnz .LBB1_200
.LBB1_199:                              ;   in Loop: Header=BB1_160 Depth=1
	global_load_dwordx2 v[16:17], v26, s[10:11]
	s_add_i32 s14, s15, -8
.LBB1_200:                              ;   in Loop: Header=BB1_160 Depth=1
	s_add_u32 s10, s0, 8
	s_addc_u32 s11, s1, 0
	s_cmp_gt_u32 s14, 7
	s_cbranch_scc1 .LBB1_204
; %bb.201:                              ;   in Loop: Header=BB1_160 Depth=1
	s_cmp_eq_u32 s14, 0
	s_cbranch_scc1 .LBB1_205
; %bb.202:                              ;   in Loop: Header=BB1_160 Depth=1
	v_mov_b32_e32 v18, 0
	s_mov_b64 s[10:11], 0
	v_mov_b32_e32 v19, 0
	s_mov_b64 s[12:13], 0
.LBB1_203:                              ;   Parent Loop BB1_160 Depth=1
                                        ; =>  This Inner Loop Header: Depth=2
	s_add_u32 s16, s0, s12
	s_addc_u32 s17, s1, s13
	global_load_ubyte v6, v26, s[16:17]
	s_add_u32 s12, s12, 1
	s_addc_u32 s13, s13, 0
	s_waitcnt vmcnt(0)
	v_and_b32_e32 v25, 0xffff, v6
	v_lshlrev_b64 v[6:7], s10, v[25:26]
	s_add_u32 s10, s10, 8
	s_addc_u32 s11, s11, 0
	v_or_b32_e32 v18, v6, v18
	s_cmp_lg_u32 s14, s12
	v_or_b32_e32 v19, v7, v19
	s_cbranch_scc1 .LBB1_203
	s_branch .LBB1_206
.LBB1_204:                              ;   in Loop: Header=BB1_160 Depth=1
                                        ; implicit-def: $vgpr18_vgpr19
	s_mov_b32 s15, 0
	s_branch .LBB1_207
.LBB1_205:                              ;   in Loop: Header=BB1_160 Depth=1
	v_mov_b32_e32 v18, 0
	v_mov_b32_e32 v19, 0
.LBB1_206:                              ;   in Loop: Header=BB1_160 Depth=1
	s_mov_b64 s[10:11], s[0:1]
	s_mov_b32 s15, 0
	s_cbranch_execnz .LBB1_208
.LBB1_207:                              ;   in Loop: Header=BB1_160 Depth=1
	global_load_dwordx2 v[18:19], v26, s[0:1]
	s_add_i32 s15, s14, -8
.LBB1_208:                              ;   in Loop: Header=BB1_160 Depth=1
	s_cmp_gt_u32 s15, 7
	s_cbranch_scc1 .LBB1_212
; %bb.209:                              ;   in Loop: Header=BB1_160 Depth=1
	s_cmp_eq_u32 s15, 0
	s_cbranch_scc1 .LBB1_213
; %bb.210:                              ;   in Loop: Header=BB1_160 Depth=1
	v_mov_b32_e32 v20, 0
	s_mov_b64 s[0:1], 0
	v_mov_b32_e32 v21, 0
	s_mov_b64 s[12:13], s[10:11]
.LBB1_211:                              ;   Parent Loop BB1_160 Depth=1
                                        ; =>  This Inner Loop Header: Depth=2
	global_load_ubyte v6, v26, s[12:13]
	s_add_i32 s15, s15, -1
	s_waitcnt vmcnt(0)
	v_and_b32_e32 v25, 0xffff, v6
	v_lshlrev_b64 v[6:7], s0, v[25:26]
	s_add_u32 s0, s0, 8
	s_addc_u32 s1, s1, 0
	s_add_u32 s12, s12, 1
	s_addc_u32 s13, s13, 0
	v_or_b32_e32 v20, v6, v20
	s_cmp_lg_u32 s15, 0
	v_or_b32_e32 v21, v7, v21
	s_cbranch_scc1 .LBB1_211
	s_branch .LBB1_214
.LBB1_212:                              ;   in Loop: Header=BB1_160 Depth=1
	s_branch .LBB1_215
.LBB1_213:                              ;   in Loop: Header=BB1_160 Depth=1
	v_mov_b32_e32 v20, 0
	v_mov_b32_e32 v21, 0
.LBB1_214:                              ;   in Loop: Header=BB1_160 Depth=1
	s_cbranch_execnz .LBB1_216
.LBB1_215:                              ;   in Loop: Header=BB1_160 Depth=1
	global_load_dwordx2 v[20:21], v26, s[10:11]
.LBB1_216:                              ;   in Loop: Header=BB1_160 Depth=1
	v_readfirstlane_b32 s0, v32
	v_mov_b32_e32 v6, 0
	v_mov_b32_e32 v7, 0
	v_cmp_eq_u32_e64 s[0:1], s0, v32
	s_and_saveexec_b64 s[10:11], s[0:1]
	s_cbranch_execz .LBB1_222
; %bb.217:                              ;   in Loop: Header=BB1_160 Depth=1
	global_load_dwordx2 v[24:25], v26, s[2:3] offset:24 glc
	s_waitcnt vmcnt(0)
	buffer_wbinvl1_vol
	global_load_dwordx2 v[6:7], v26, s[2:3] offset:40
	global_load_dwordx2 v[22:23], v26, s[2:3]
	s_waitcnt vmcnt(1)
	v_and_b32_e32 v6, v6, v24
	v_and_b32_e32 v7, v7, v25
	v_mul_lo_u32 v7, v7, 24
	v_mul_hi_u32 v27, v6, 24
	v_mul_lo_u32 v6, v6, 24
	v_add_u32_e32 v7, v27, v7
	s_waitcnt vmcnt(0)
	v_add_co_u32_e32 v6, vcc, v22, v6
	v_addc_co_u32_e32 v7, vcc, v23, v7, vcc
	global_load_dwordx2 v[22:23], v[6:7], off glc
	s_waitcnt vmcnt(0)
	global_atomic_cmpswap_x2 v[6:7], v26, v[22:25], s[2:3] offset:24 glc
	s_waitcnt vmcnt(0)
	buffer_wbinvl1_vol
	v_cmp_ne_u64_e32 vcc, v[6:7], v[24:25]
	s_and_saveexec_b64 s[12:13], vcc
	s_cbranch_execz .LBB1_221
; %bb.218:                              ;   in Loop: Header=BB1_160 Depth=1
	s_mov_b64 s[14:15], 0
.LBB1_219:                              ;   Parent Loop BB1_160 Depth=1
                                        ; =>  This Inner Loop Header: Depth=2
	s_sleep 1
	global_load_dwordx2 v[22:23], v26, s[2:3] offset:40
	global_load_dwordx2 v[27:28], v26, s[2:3]
	v_mov_b32_e32 v25, v7
	v_mov_b32_e32 v24, v6
	s_waitcnt vmcnt(1)
	v_and_b32_e32 v6, v22, v24
	s_waitcnt vmcnt(0)
	v_mad_u64_u32 v[6:7], s[16:17], v6, 24, v[27:28]
	v_and_b32_e32 v22, v23, v25
	v_mad_u64_u32 v[22:23], s[16:17], v22, 24, v[7:8]
	v_mov_b32_e32 v7, v22
	global_load_dwordx2 v[22:23], v[6:7], off glc
	s_waitcnt vmcnt(0)
	global_atomic_cmpswap_x2 v[6:7], v26, v[22:25], s[2:3] offset:24 glc
	s_waitcnt vmcnt(0)
	buffer_wbinvl1_vol
	v_cmp_eq_u64_e32 vcc, v[6:7], v[24:25]
	s_or_b64 s[14:15], vcc, s[14:15]
	s_andn2_b64 exec, exec, s[14:15]
	s_cbranch_execnz .LBB1_219
; %bb.220:                              ;   in Loop: Header=BB1_160 Depth=1
	s_or_b64 exec, exec, s[14:15]
.LBB1_221:                              ;   in Loop: Header=BB1_160 Depth=1
	s_or_b64 exec, exec, s[12:13]
.LBB1_222:                              ;   in Loop: Header=BB1_160 Depth=1
	s_or_b64 exec, exec, s[10:11]
	global_load_dwordx2 v[27:28], v26, s[2:3] offset:40
	global_load_dwordx4 v[22:25], v26, s[2:3]
	v_readfirstlane_b32 s11, v7
	v_readfirstlane_b32 s10, v6
	s_mov_b64 s[12:13], exec
	s_waitcnt vmcnt(1)
	v_readfirstlane_b32 s14, v27
	v_readfirstlane_b32 s15, v28
	s_and_b64 s[14:15], s[14:15], s[10:11]
	s_mul_i32 s16, s15, 24
	s_mul_hi_u32 s17, s14, 24
	s_mul_i32 s18, s14, 24
	s_add_i32 s16, s17, s16
	v_mov_b32_e32 v6, s16
	s_waitcnt vmcnt(0)
	v_add_co_u32_e32 v27, vcc, s18, v22
	v_addc_co_u32_e32 v28, vcc, v23, v6, vcc
	s_and_saveexec_b64 s[16:17], s[0:1]
	s_cbranch_execz .LBB1_224
; %bb.223:                              ;   in Loop: Header=BB1_160 Depth=1
	v_mov_b32_e32 v6, s12
	v_mov_b32_e32 v7, s13
	global_store_dwordx4 v[27:28], v[6:9], off offset:8
.LBB1_224:                              ;   in Loop: Header=BB1_160 Depth=1
	s_or_b64 exec, exec, s[16:17]
	s_lshl_b64 s[12:13], s[14:15], 12
	v_mov_b32_e32 v6, s13
	v_add_co_u32_e32 v24, vcc, s12, v24
	v_addc_co_u32_e32 v30, vcc, v25, v6, vcc
	v_cmp_lt_u64_e64 vcc, s[6:7], 57
	s_lshl_b32 s12, s8, 2
	v_cndmask_b32_e32 v6, 0, v29, vcc
	s_add_i32 s12, s12, 28
	v_and_b32_e32 v0, 0xffffff1f, v0
	s_and_b32 s12, s12, 0x1e0
	v_or_b32_e32 v0, v0, v6
	v_or_b32_e32 v0, s12, v0
	v_readfirstlane_b32 s12, v24
	v_readfirstlane_b32 s13, v30
	s_nop 4
	global_store_dwordx4 v31, v[0:3], s[12:13]
	global_store_dwordx4 v31, v[10:13], s[12:13] offset:16
	global_store_dwordx4 v31, v[14:17], s[12:13] offset:32
	;; [unrolled: 1-line block ×3, first 2 shown]
	s_and_saveexec_b64 s[12:13], s[0:1]
	s_cbranch_execz .LBB1_232
; %bb.225:                              ;   in Loop: Header=BB1_160 Depth=1
	global_load_dwordx2 v[12:13], v26, s[2:3] offset:32 glc
	global_load_dwordx2 v[0:1], v26, s[2:3] offset:40
	v_mov_b32_e32 v10, s10
	v_mov_b32_e32 v11, s11
	s_waitcnt vmcnt(0)
	v_readfirstlane_b32 s14, v0
	v_readfirstlane_b32 s15, v1
	s_and_b64 s[14:15], s[14:15], s[10:11]
	s_mul_i32 s15, s15, 24
	s_mul_hi_u32 s16, s14, 24
	s_mul_i32 s14, s14, 24
	s_add_i32 s15, s16, s15
	v_mov_b32_e32 v0, s15
	v_add_co_u32_e32 v6, vcc, s14, v22
	v_addc_co_u32_e32 v7, vcc, v23, v0, vcc
	global_store_dwordx2 v[6:7], v[12:13], off
	s_waitcnt vmcnt(0)
	global_atomic_cmpswap_x2 v[2:3], v26, v[10:13], s[2:3] offset:32 glc
	s_waitcnt vmcnt(0)
	v_cmp_ne_u64_e32 vcc, v[2:3], v[12:13]
	s_and_saveexec_b64 s[14:15], vcc
	s_cbranch_execz .LBB1_228
; %bb.226:                              ;   in Loop: Header=BB1_160 Depth=1
	s_mov_b64 s[16:17], 0
.LBB1_227:                              ;   Parent Loop BB1_160 Depth=1
                                        ; =>  This Inner Loop Header: Depth=2
	s_sleep 1
	global_store_dwordx2 v[6:7], v[2:3], off
	v_mov_b32_e32 v0, s10
	v_mov_b32_e32 v1, s11
	s_waitcnt vmcnt(0)
	global_atomic_cmpswap_x2 v[0:1], v26, v[0:3], s[2:3] offset:32 glc
	s_waitcnt vmcnt(0)
	v_cmp_eq_u64_e32 vcc, v[0:1], v[2:3]
	v_mov_b32_e32 v3, v1
	s_or_b64 s[16:17], vcc, s[16:17]
	v_mov_b32_e32 v2, v0
	s_andn2_b64 exec, exec, s[16:17]
	s_cbranch_execnz .LBB1_227
.LBB1_228:                              ;   in Loop: Header=BB1_160 Depth=1
	s_or_b64 exec, exec, s[14:15]
	global_load_dwordx2 v[0:1], v26, s[2:3] offset:16
	s_mov_b64 s[16:17], exec
	v_mbcnt_lo_u32_b32 v2, s16, 0
	v_mbcnt_hi_u32_b32 v2, s17, v2
	v_cmp_eq_u32_e32 vcc, 0, v2
	s_and_saveexec_b64 s[14:15], vcc
	s_cbranch_execz .LBB1_230
; %bb.229:                              ;   in Loop: Header=BB1_160 Depth=1
	s_bcnt1_i32_b64 s16, s[16:17]
	v_mov_b32_e32 v25, s16
	s_waitcnt vmcnt(0)
	global_atomic_add_x2 v[0:1], v[25:26], off offset:8
.LBB1_230:                              ;   in Loop: Header=BB1_160 Depth=1
	s_or_b64 exec, exec, s[14:15]
	s_waitcnt vmcnt(0)
	global_load_dwordx2 v[2:3], v[0:1], off offset:16
	s_waitcnt vmcnt(0)
	v_cmp_eq_u64_e32 vcc, 0, v[2:3]
	s_cbranch_vccnz .LBB1_232
; %bb.231:                              ;   in Loop: Header=BB1_160 Depth=1
	global_load_dword v25, v[0:1], off offset:24
	s_waitcnt vmcnt(0)
	v_readfirstlane_b32 s14, v25
	s_and_b32 m0, s14, 0xffffff
	global_store_dwordx2 v[2:3], v[25:26], off
	s_sendmsg sendmsg(MSG_INTERRUPT)
.LBB1_232:                              ;   in Loop: Header=BB1_160 Depth=1
	s_or_b64 exec, exec, s[12:13]
	v_add_co_u32_e32 v0, vcc, v24, v31
	v_addc_co_u32_e32 v1, vcc, 0, v30, vcc
	s_branch .LBB1_236
.LBB1_233:                              ;   in Loop: Header=BB1_236 Depth=2
	s_or_b64 exec, exec, s[12:13]
	v_readfirstlane_b32 s12, v2
	s_cmp_eq_u32 s12, 0
	s_cbranch_scc1 .LBB1_235
; %bb.234:                              ;   in Loop: Header=BB1_236 Depth=2
	s_sleep 1
	s_cbranch_execnz .LBB1_236
	s_branch .LBB1_238
.LBB1_235:                              ;   in Loop: Header=BB1_160 Depth=1
	s_branch .LBB1_238
.LBB1_236:                              ;   Parent Loop BB1_160 Depth=1
                                        ; =>  This Inner Loop Header: Depth=2
	v_mov_b32_e32 v2, 1
	s_and_saveexec_b64 s[12:13], s[0:1]
	s_cbranch_execz .LBB1_233
; %bb.237:                              ;   in Loop: Header=BB1_236 Depth=2
	global_load_dword v2, v[27:28], off offset:20 glc
	s_waitcnt vmcnt(0)
	buffer_wbinvl1_vol
	v_and_b32_e32 v2, 1, v2
	s_branch .LBB1_233
.LBB1_238:                              ;   in Loop: Header=BB1_160 Depth=1
	global_load_dwordx2 v[0:1], v[0:1], off
	s_and_saveexec_b64 s[12:13], s[0:1]
	s_cbranch_execz .LBB1_159
; %bb.239:                              ;   in Loop: Header=BB1_160 Depth=1
	global_load_dwordx2 v[2:3], v26, s[2:3] offset:40
	global_load_dwordx2 v[14:15], v26, s[2:3] offset:24 glc
	global_load_dwordx2 v[6:7], v26, s[2:3]
	s_waitcnt vmcnt(2)
	v_readfirstlane_b32 s14, v2
	v_readfirstlane_b32 s15, v3
	s_add_u32 s16, s14, 1
	s_addc_u32 s17, s15, 0
	s_add_u32 s0, s16, s10
	s_addc_u32 s1, s17, s11
	s_cmp_eq_u64 s[0:1], 0
	s_cselect_b32 s1, s17, s1
	s_cselect_b32 s0, s16, s0
	s_and_b64 s[10:11], s[0:1], s[14:15]
	s_mul_i32 s11, s11, 24
	s_mul_hi_u32 s14, s10, 24
	s_mul_i32 s10, s10, 24
	s_add_i32 s11, s14, s11
	v_mov_b32_e32 v3, s11
	s_waitcnt vmcnt(0)
	v_add_co_u32_e32 v2, vcc, s10, v6
	v_addc_co_u32_e32 v3, vcc, v7, v3, vcc
	v_mov_b32_e32 v12, s0
	global_store_dwordx2 v[2:3], v[14:15], off
	v_mov_b32_e32 v13, s1
	s_waitcnt vmcnt(0)
	global_atomic_cmpswap_x2 v[12:13], v26, v[12:15], s[2:3] offset:24 glc
	s_waitcnt vmcnt(0)
	v_cmp_ne_u64_e32 vcc, v[12:13], v[14:15]
	s_and_b64 exec, exec, vcc
	s_cbranch_execz .LBB1_159
; %bb.240:                              ;   in Loop: Header=BB1_160 Depth=1
	s_mov_b64 s[10:11], 0
.LBB1_241:                              ;   Parent Loop BB1_160 Depth=1
                                        ; =>  This Inner Loop Header: Depth=2
	s_sleep 1
	global_store_dwordx2 v[2:3], v[12:13], off
	v_mov_b32_e32 v10, s0
	v_mov_b32_e32 v11, s1
	s_waitcnt vmcnt(0)
	global_atomic_cmpswap_x2 v[6:7], v26, v[10:13], s[2:3] offset:24 glc
	s_waitcnt vmcnt(0)
	v_cmp_eq_u64_e32 vcc, v[6:7], v[12:13]
	v_mov_b32_e32 v13, v7
	s_or_b64 s[10:11], vcc, s[10:11]
	v_mov_b32_e32 v12, v6
	s_andn2_b64 exec, exec, s[10:11]
	s_cbranch_execnz .LBB1_241
	s_branch .LBB1_159
.LBB1_242:
	s_mov_b64 s[0:1], -1
                                        ; implicit-def: $vgpr0_vgpr1
	s_branch .LBB1_244
.LBB1_243:
	s_mov_b64 s[0:1], 0
.LBB1_244:
	s_and_b64 vcc, exec, s[0:1]
	s_cbranch_vccz .LBB1_271
; %bb.245:
	v_readfirstlane_b32 s0, v32
	v_mov_b32_e32 v7, 0
	v_mov_b32_e32 v8, 0
	v_cmp_eq_u32_e64 s[0:1], s0, v32
	s_and_saveexec_b64 s[4:5], s[0:1]
	s_cbranch_execz .LBB1_251
; %bb.246:
	s_waitcnt vmcnt(0)
	v_mov_b32_e32 v0, 0
	global_load_dwordx2 v[9:10], v0, s[2:3] offset:24 glc
	s_waitcnt vmcnt(0)
	buffer_wbinvl1_vol
	global_load_dwordx2 v[1:2], v0, s[2:3] offset:40
	global_load_dwordx2 v[6:7], v0, s[2:3]
	s_waitcnt vmcnt(1)
	v_and_b32_e32 v1, v1, v9
	v_and_b32_e32 v2, v2, v10
	v_mul_lo_u32 v2, v2, 24
	v_mul_hi_u32 v3, v1, 24
	v_mul_lo_u32 v1, v1, 24
	v_add_u32_e32 v2, v3, v2
	s_waitcnt vmcnt(0)
	v_add_co_u32_e32 v1, vcc, v6, v1
	v_addc_co_u32_e32 v2, vcc, v7, v2, vcc
	global_load_dwordx2 v[7:8], v[1:2], off glc
	s_waitcnt vmcnt(0)
	global_atomic_cmpswap_x2 v[7:8], v0, v[7:10], s[2:3] offset:24 glc
	s_waitcnt vmcnt(0)
	buffer_wbinvl1_vol
	v_cmp_ne_u64_e32 vcc, v[7:8], v[9:10]
	s_and_saveexec_b64 s[6:7], vcc
	s_cbranch_execz .LBB1_250
; %bb.247:
	s_mov_b64 s[8:9], 0
.LBB1_248:                              ; =>This Inner Loop Header: Depth=1
	s_sleep 1
	global_load_dwordx2 v[1:2], v0, s[2:3] offset:40
	global_load_dwordx2 v[11:12], v0, s[2:3]
	v_mov_b32_e32 v10, v8
	v_mov_b32_e32 v9, v7
	s_waitcnt vmcnt(1)
	v_and_b32_e32 v1, v1, v9
	s_waitcnt vmcnt(0)
	v_mad_u64_u32 v[6:7], s[10:11], v1, 24, v[11:12]
	v_and_b32_e32 v2, v2, v10
	v_mov_b32_e32 v1, v7
	v_mad_u64_u32 v[1:2], s[10:11], v2, 24, v[1:2]
	v_mov_b32_e32 v7, v1
	global_load_dwordx2 v[7:8], v[6:7], off glc
	s_waitcnt vmcnt(0)
	global_atomic_cmpswap_x2 v[7:8], v0, v[7:10], s[2:3] offset:24 glc
	s_waitcnt vmcnt(0)
	buffer_wbinvl1_vol
	v_cmp_eq_u64_e32 vcc, v[7:8], v[9:10]
	s_or_b64 s[8:9], vcc, s[8:9]
	s_andn2_b64 exec, exec, s[8:9]
	s_cbranch_execnz .LBB1_248
; %bb.249:
	s_or_b64 exec, exec, s[8:9]
.LBB1_250:
	s_or_b64 exec, exec, s[6:7]
.LBB1_251:
	s_or_b64 exec, exec, s[4:5]
	v_mov_b32_e32 v6, 0
	global_load_dwordx2 v[9:10], v6, s[2:3] offset:40
	global_load_dwordx4 v[0:3], v6, s[2:3]
	v_readfirstlane_b32 s5, v8
	v_readfirstlane_b32 s4, v7
	s_mov_b64 s[6:7], exec
	s_waitcnt vmcnt(1)
	v_readfirstlane_b32 s8, v9
	v_readfirstlane_b32 s9, v10
	s_and_b64 s[8:9], s[8:9], s[4:5]
	s_mul_i32 s10, s9, 24
	s_mul_hi_u32 s11, s8, 24
	s_mul_i32 s12, s8, 24
	s_add_i32 s10, s11, s10
	v_mov_b32_e32 v7, s10
	s_waitcnt vmcnt(0)
	v_add_co_u32_e32 v8, vcc, s12, v0
	v_addc_co_u32_e32 v9, vcc, v1, v7, vcc
	s_and_saveexec_b64 s[10:11], s[0:1]
	s_cbranch_execz .LBB1_253
; %bb.252:
	v_mov_b32_e32 v11, s7
	v_mov_b32_e32 v10, s6
	;; [unrolled: 1-line block ×4, first 2 shown]
	global_store_dwordx4 v[8:9], v[10:13], off offset:8
.LBB1_253:
	s_or_b64 exec, exec, s[10:11]
	s_lshl_b64 s[6:7], s[8:9], 12
	v_mov_b32_e32 v7, s7
	v_add_co_u32_e32 v2, vcc, s6, v2
	v_addc_co_u32_e32 v3, vcc, v3, v7, vcc
	s_movk_i32 s6, 0xff1f
	v_and_or_b32 v4, v4, s6, 32
	v_add_co_u32_e32 v10, vcc, v2, v31
	s_mov_b32 s8, 0
	v_mov_b32_e32 v7, v6
	v_readfirstlane_b32 s6, v2
	v_readfirstlane_b32 s7, v3
	v_addc_co_u32_e32 v11, vcc, 0, v3, vcc
	s_mov_b32 s9, s8
	s_mov_b32 s10, s8
	;; [unrolled: 1-line block ×3, first 2 shown]
	s_nop 0
	global_store_dwordx4 v31, v[4:7], s[6:7]
	v_mov_b32_e32 v2, s8
	v_mov_b32_e32 v3, s9
	;; [unrolled: 1-line block ×4, first 2 shown]
	global_store_dwordx4 v31, v[2:5], s[6:7] offset:16
	global_store_dwordx4 v31, v[2:5], s[6:7] offset:32
	;; [unrolled: 1-line block ×3, first 2 shown]
	s_and_saveexec_b64 s[6:7], s[0:1]
	s_cbranch_execz .LBB1_261
; %bb.254:
	v_mov_b32_e32 v6, 0
	global_load_dwordx2 v[14:15], v6, s[2:3] offset:32 glc
	global_load_dwordx2 v[2:3], v6, s[2:3] offset:40
	v_mov_b32_e32 v12, s4
	v_mov_b32_e32 v13, s5
	s_waitcnt vmcnt(0)
	v_readfirstlane_b32 s8, v2
	v_readfirstlane_b32 s9, v3
	s_and_b64 s[8:9], s[8:9], s[4:5]
	s_mul_i32 s9, s9, 24
	s_mul_hi_u32 s10, s8, 24
	s_mul_i32 s8, s8, 24
	s_add_i32 s9, s10, s9
	v_mov_b32_e32 v2, s9
	v_add_co_u32_e32 v4, vcc, s8, v0
	v_addc_co_u32_e32 v5, vcc, v1, v2, vcc
	global_store_dwordx2 v[4:5], v[14:15], off
	s_waitcnt vmcnt(0)
	global_atomic_cmpswap_x2 v[2:3], v6, v[12:15], s[2:3] offset:32 glc
	s_waitcnt vmcnt(0)
	v_cmp_ne_u64_e32 vcc, v[2:3], v[14:15]
	s_and_saveexec_b64 s[8:9], vcc
	s_cbranch_execz .LBB1_257
; %bb.255:
	s_mov_b64 s[10:11], 0
.LBB1_256:                              ; =>This Inner Loop Header: Depth=1
	s_sleep 1
	global_store_dwordx2 v[4:5], v[2:3], off
	v_mov_b32_e32 v0, s4
	v_mov_b32_e32 v1, s5
	s_waitcnt vmcnt(0)
	global_atomic_cmpswap_x2 v[0:1], v6, v[0:3], s[2:3] offset:32 glc
	s_waitcnt vmcnt(0)
	v_cmp_eq_u64_e32 vcc, v[0:1], v[2:3]
	v_mov_b32_e32 v3, v1
	s_or_b64 s[10:11], vcc, s[10:11]
	v_mov_b32_e32 v2, v0
	s_andn2_b64 exec, exec, s[10:11]
	s_cbranch_execnz .LBB1_256
.LBB1_257:
	s_or_b64 exec, exec, s[8:9]
	v_mov_b32_e32 v3, 0
	global_load_dwordx2 v[0:1], v3, s[2:3] offset:16
	s_mov_b64 s[8:9], exec
	v_mbcnt_lo_u32_b32 v2, s8, 0
	v_mbcnt_hi_u32_b32 v2, s9, v2
	v_cmp_eq_u32_e32 vcc, 0, v2
	s_and_saveexec_b64 s[10:11], vcc
	s_cbranch_execz .LBB1_259
; %bb.258:
	s_bcnt1_i32_b64 s8, s[8:9]
	v_mov_b32_e32 v2, s8
	s_waitcnt vmcnt(0)
	global_atomic_add_x2 v[0:1], v[2:3], off offset:8
.LBB1_259:
	s_or_b64 exec, exec, s[10:11]
	s_waitcnt vmcnt(0)
	global_load_dwordx2 v[2:3], v[0:1], off offset:16
	s_waitcnt vmcnt(0)
	v_cmp_eq_u64_e32 vcc, 0, v[2:3]
	s_cbranch_vccnz .LBB1_261
; %bb.260:
	global_load_dword v0, v[0:1], off offset:24
	v_mov_b32_e32 v1, 0
	s_waitcnt vmcnt(0)
	v_readfirstlane_b32 s8, v0
	s_and_b32 m0, s8, 0xffffff
	global_store_dwordx2 v[2:3], v[0:1], off
	s_sendmsg sendmsg(MSG_INTERRUPT)
.LBB1_261:
	s_or_b64 exec, exec, s[6:7]
	s_branch .LBB1_265
.LBB1_262:                              ;   in Loop: Header=BB1_265 Depth=1
	s_or_b64 exec, exec, s[6:7]
	v_readfirstlane_b32 s6, v0
	s_cmp_eq_u32 s6, 0
	s_cbranch_scc1 .LBB1_264
; %bb.263:                              ;   in Loop: Header=BB1_265 Depth=1
	s_sleep 1
	s_cbranch_execnz .LBB1_265
	s_branch .LBB1_267
.LBB1_264:
	s_branch .LBB1_267
.LBB1_265:                              ; =>This Inner Loop Header: Depth=1
	v_mov_b32_e32 v0, 1
	s_and_saveexec_b64 s[6:7], s[0:1]
	s_cbranch_execz .LBB1_262
; %bb.266:                              ;   in Loop: Header=BB1_265 Depth=1
	global_load_dword v0, v[8:9], off offset:20 glc
	s_waitcnt vmcnt(0)
	buffer_wbinvl1_vol
	v_and_b32_e32 v0, 1, v0
	s_branch .LBB1_262
.LBB1_267:
	global_load_dwordx2 v[0:1], v[10:11], off
	s_and_saveexec_b64 s[6:7], s[0:1]
	s_cbranch_execz .LBB1_270
; %bb.268:
	v_mov_b32_e32 v8, 0
	global_load_dwordx2 v[2:3], v8, s[2:3] offset:40
	global_load_dwordx2 v[11:12], v8, s[2:3] offset:24 glc
	global_load_dwordx2 v[4:5], v8, s[2:3]
	s_waitcnt vmcnt(2)
	v_readfirstlane_b32 s8, v2
	v_readfirstlane_b32 s9, v3
	s_add_u32 s10, s8, 1
	s_addc_u32 s11, s9, 0
	s_add_u32 s0, s10, s4
	s_addc_u32 s1, s11, s5
	s_cmp_eq_u64 s[0:1], 0
	s_cselect_b32 s1, s11, s1
	s_cselect_b32 s0, s10, s0
	s_and_b64 s[4:5], s[0:1], s[8:9]
	s_mul_i32 s5, s5, 24
	s_mul_hi_u32 s8, s4, 24
	s_mul_i32 s4, s4, 24
	s_add_i32 s5, s8, s5
	v_mov_b32_e32 v2, s5
	s_waitcnt vmcnt(0)
	v_add_co_u32_e32 v6, vcc, s4, v4
	v_addc_co_u32_e32 v7, vcc, v5, v2, vcc
	v_mov_b32_e32 v9, s0
	global_store_dwordx2 v[6:7], v[11:12], off
	v_mov_b32_e32 v10, s1
	s_waitcnt vmcnt(0)
	global_atomic_cmpswap_x2 v[4:5], v8, v[9:12], s[2:3] offset:24 glc
	s_mov_b64 s[4:5], 0
	s_waitcnt vmcnt(0)
	v_cmp_ne_u64_e32 vcc, v[4:5], v[11:12]
	s_and_b64 exec, exec, vcc
	s_cbranch_execz .LBB1_270
.LBB1_269:                              ; =>This Inner Loop Header: Depth=1
	s_sleep 1
	global_store_dwordx2 v[6:7], v[4:5], off
	v_mov_b32_e32 v2, s0
	v_mov_b32_e32 v3, s1
	s_waitcnt vmcnt(0)
	global_atomic_cmpswap_x2 v[2:3], v8, v[2:5], s[2:3] offset:24 glc
	s_waitcnt vmcnt(0)
	v_cmp_eq_u64_e32 vcc, v[2:3], v[4:5]
	v_mov_b32_e32 v5, v3
	s_or_b64 s[4:5], vcc, s[4:5]
	v_mov_b32_e32 v4, v2
	s_andn2_b64 exec, exec, s[4:5]
	s_cbranch_execnz .LBB1_269
.LBB1_270:
	s_or_b64 exec, exec, s[6:7]
.LBB1_271:
	s_getpc_b64 s[4:5]
	s_add_u32 s4, s4, __FUNCTION__._ZN9rocsparseL39csr2csr_compress_fill_warp_start_deviceILj256ELj32ELj2EfEEviPKT2_PjS1_@rel32@lo+4
	s_addc_u32 s5, s5, __FUNCTION__._ZN9rocsparseL39csr2csr_compress_fill_warp_start_deviceILj256ELj32ELj2EfEEviPKT2_PjS1_@rel32@hi+12
	s_cmp_lg_u64 s[4:5], 0
	s_cbranch_scc0 .LBB1_356
; %bb.272:
	s_waitcnt vmcnt(0)
	v_and_b32_e32 v29, 2, v0
	v_mov_b32_e32 v26, 0
	v_and_b32_e32 v2, -3, v0
	v_mov_b32_e32 v3, v1
	s_mov_b64 s[6:7], 40
	v_mov_b32_e32 v8, 2
	v_mov_b32_e32 v9, 1
	s_branch .LBB1_274
.LBB1_273:                              ;   in Loop: Header=BB1_274 Depth=1
	s_or_b64 exec, exec, s[12:13]
	s_sub_u32 s6, s6, s8
	s_subb_u32 s7, s7, s9
	s_add_u32 s4, s4, s8
	s_addc_u32 s5, s5, s9
	s_cmp_lg_u64 s[6:7], 0
	s_cbranch_scc0 .LBB1_357
.LBB1_274:                              ; =>This Loop Header: Depth=1
                                        ;     Child Loop BB1_277 Depth 2
                                        ;     Child Loop BB1_285 Depth 2
	;; [unrolled: 1-line block ×11, first 2 shown]
	v_cmp_lt_u64_e64 s[0:1], s[6:7], 56
	v_cmp_gt_u64_e64 s[10:11], s[6:7], 7
	s_and_b64 s[0:1], s[0:1], exec
	s_cselect_b32 s9, s7, 0
	s_cselect_b32 s8, s6, 56
	s_add_u32 s0, s4, 8
	s_addc_u32 s1, s5, 0
	s_and_b64 vcc, exec, s[10:11]
	s_cbranch_vccnz .LBB1_278
; %bb.275:                              ;   in Loop: Header=BB1_274 Depth=1
	s_cmp_eq_u64 s[6:7], 0
	s_cbranch_scc1 .LBB1_279
; %bb.276:                              ;   in Loop: Header=BB1_274 Depth=1
	v_mov_b32_e32 v4, 0
	s_lshl_b64 s[0:1], s[8:9], 3
	s_mov_b64 s[10:11], 0
	v_mov_b32_e32 v5, 0
	s_mov_b64 s[12:13], s[4:5]
.LBB1_277:                              ;   Parent Loop BB1_274 Depth=1
                                        ; =>  This Inner Loop Header: Depth=2
	global_load_ubyte v6, v26, s[12:13]
	s_waitcnt vmcnt(0)
	v_and_b32_e32 v25, 0xffff, v6
	v_lshlrev_b64 v[6:7], s10, v[25:26]
	s_add_u32 s10, s10, 8
	s_addc_u32 s11, s11, 0
	s_add_u32 s12, s12, 1
	s_addc_u32 s13, s13, 0
	v_or_b32_e32 v4, v6, v4
	s_cmp_lg_u32 s0, s10
	v_or_b32_e32 v5, v7, v5
	s_cbranch_scc1 .LBB1_277
	s_branch .LBB1_280
.LBB1_278:                              ;   in Loop: Header=BB1_274 Depth=1
	s_mov_b32 s14, 0
	s_branch .LBB1_281
.LBB1_279:                              ;   in Loop: Header=BB1_274 Depth=1
	v_mov_b32_e32 v4, 0
	v_mov_b32_e32 v5, 0
.LBB1_280:                              ;   in Loop: Header=BB1_274 Depth=1
	s_mov_b64 s[0:1], s[4:5]
	s_mov_b32 s14, 0
	s_cbranch_execnz .LBB1_282
.LBB1_281:                              ;   in Loop: Header=BB1_274 Depth=1
	global_load_dwordx2 v[4:5], v26, s[4:5]
	s_add_i32 s14, s8, -8
.LBB1_282:                              ;   in Loop: Header=BB1_274 Depth=1
	s_add_u32 s10, s0, 8
	s_addc_u32 s11, s1, 0
	s_cmp_gt_u32 s14, 7
	s_cbranch_scc1 .LBB1_286
; %bb.283:                              ;   in Loop: Header=BB1_274 Depth=1
	s_cmp_eq_u32 s14, 0
	s_cbranch_scc1 .LBB1_287
; %bb.284:                              ;   in Loop: Header=BB1_274 Depth=1
	v_mov_b32_e32 v10, 0
	s_mov_b64 s[10:11], 0
	v_mov_b32_e32 v11, 0
	s_mov_b64 s[12:13], 0
.LBB1_285:                              ;   Parent Loop BB1_274 Depth=1
                                        ; =>  This Inner Loop Header: Depth=2
	s_add_u32 s16, s0, s12
	s_addc_u32 s17, s1, s13
	global_load_ubyte v6, v26, s[16:17]
	s_add_u32 s12, s12, 1
	s_addc_u32 s13, s13, 0
	s_waitcnt vmcnt(0)
	v_and_b32_e32 v25, 0xffff, v6
	v_lshlrev_b64 v[6:7], s10, v[25:26]
	s_add_u32 s10, s10, 8
	s_addc_u32 s11, s11, 0
	v_or_b32_e32 v10, v6, v10
	s_cmp_lg_u32 s14, s12
	v_or_b32_e32 v11, v7, v11
	s_cbranch_scc1 .LBB1_285
	s_branch .LBB1_288
.LBB1_286:                              ;   in Loop: Header=BB1_274 Depth=1
                                        ; implicit-def: $vgpr10_vgpr11
	s_mov_b32 s15, 0
	s_branch .LBB1_289
.LBB1_287:                              ;   in Loop: Header=BB1_274 Depth=1
	v_mov_b32_e32 v10, 0
	v_mov_b32_e32 v11, 0
.LBB1_288:                              ;   in Loop: Header=BB1_274 Depth=1
	s_mov_b64 s[10:11], s[0:1]
	s_mov_b32 s15, 0
	s_cbranch_execnz .LBB1_290
.LBB1_289:                              ;   in Loop: Header=BB1_274 Depth=1
	global_load_dwordx2 v[10:11], v26, s[0:1]
	s_add_i32 s15, s14, -8
.LBB1_290:                              ;   in Loop: Header=BB1_274 Depth=1
	s_add_u32 s0, s10, 8
	s_addc_u32 s1, s11, 0
	s_cmp_gt_u32 s15, 7
	s_cbranch_scc1 .LBB1_294
; %bb.291:                              ;   in Loop: Header=BB1_274 Depth=1
	s_cmp_eq_u32 s15, 0
	s_cbranch_scc1 .LBB1_295
; %bb.292:                              ;   in Loop: Header=BB1_274 Depth=1
	v_mov_b32_e32 v12, 0
	s_mov_b64 s[0:1], 0
	v_mov_b32_e32 v13, 0
	s_mov_b64 s[12:13], 0
.LBB1_293:                              ;   Parent Loop BB1_274 Depth=1
                                        ; =>  This Inner Loop Header: Depth=2
	s_add_u32 s16, s10, s12
	s_addc_u32 s17, s11, s13
	global_load_ubyte v6, v26, s[16:17]
	s_add_u32 s12, s12, 1
	s_addc_u32 s13, s13, 0
	s_waitcnt vmcnt(0)
	v_and_b32_e32 v25, 0xffff, v6
	v_lshlrev_b64 v[6:7], s0, v[25:26]
	s_add_u32 s0, s0, 8
	s_addc_u32 s1, s1, 0
	v_or_b32_e32 v12, v6, v12
	s_cmp_lg_u32 s15, s12
	v_or_b32_e32 v13, v7, v13
	s_cbranch_scc1 .LBB1_293
	s_branch .LBB1_296
.LBB1_294:                              ;   in Loop: Header=BB1_274 Depth=1
	s_mov_b32 s14, 0
	s_branch .LBB1_297
.LBB1_295:                              ;   in Loop: Header=BB1_274 Depth=1
	v_mov_b32_e32 v12, 0
	v_mov_b32_e32 v13, 0
.LBB1_296:                              ;   in Loop: Header=BB1_274 Depth=1
	s_mov_b64 s[0:1], s[10:11]
	s_mov_b32 s14, 0
	s_cbranch_execnz .LBB1_298
.LBB1_297:                              ;   in Loop: Header=BB1_274 Depth=1
	global_load_dwordx2 v[12:13], v26, s[10:11]
	s_add_i32 s14, s15, -8
.LBB1_298:                              ;   in Loop: Header=BB1_274 Depth=1
	s_add_u32 s10, s0, 8
	s_addc_u32 s11, s1, 0
	s_cmp_gt_u32 s14, 7
	s_cbranch_scc1 .LBB1_302
; %bb.299:                              ;   in Loop: Header=BB1_274 Depth=1
	s_cmp_eq_u32 s14, 0
	s_cbranch_scc1 .LBB1_303
; %bb.300:                              ;   in Loop: Header=BB1_274 Depth=1
	v_mov_b32_e32 v14, 0
	s_mov_b64 s[10:11], 0
	v_mov_b32_e32 v15, 0
	s_mov_b64 s[12:13], 0
.LBB1_301:                              ;   Parent Loop BB1_274 Depth=1
                                        ; =>  This Inner Loop Header: Depth=2
	s_add_u32 s16, s0, s12
	s_addc_u32 s17, s1, s13
	global_load_ubyte v6, v26, s[16:17]
	s_add_u32 s12, s12, 1
	s_addc_u32 s13, s13, 0
	s_waitcnt vmcnt(0)
	v_and_b32_e32 v25, 0xffff, v6
	v_lshlrev_b64 v[6:7], s10, v[25:26]
	s_add_u32 s10, s10, 8
	s_addc_u32 s11, s11, 0
	v_or_b32_e32 v14, v6, v14
	s_cmp_lg_u32 s14, s12
	v_or_b32_e32 v15, v7, v15
	s_cbranch_scc1 .LBB1_301
	s_branch .LBB1_304
.LBB1_302:                              ;   in Loop: Header=BB1_274 Depth=1
                                        ; implicit-def: $vgpr14_vgpr15
	s_mov_b32 s15, 0
	s_branch .LBB1_305
.LBB1_303:                              ;   in Loop: Header=BB1_274 Depth=1
	v_mov_b32_e32 v14, 0
	v_mov_b32_e32 v15, 0
.LBB1_304:                              ;   in Loop: Header=BB1_274 Depth=1
	s_mov_b64 s[10:11], s[0:1]
	s_mov_b32 s15, 0
	s_cbranch_execnz .LBB1_306
.LBB1_305:                              ;   in Loop: Header=BB1_274 Depth=1
	global_load_dwordx2 v[14:15], v26, s[0:1]
	s_add_i32 s15, s14, -8
.LBB1_306:                              ;   in Loop: Header=BB1_274 Depth=1
	s_add_u32 s0, s10, 8
	s_addc_u32 s1, s11, 0
	s_cmp_gt_u32 s15, 7
	s_cbranch_scc1 .LBB1_310
; %bb.307:                              ;   in Loop: Header=BB1_274 Depth=1
	s_cmp_eq_u32 s15, 0
	s_cbranch_scc1 .LBB1_311
; %bb.308:                              ;   in Loop: Header=BB1_274 Depth=1
	v_mov_b32_e32 v16, 0
	s_mov_b64 s[0:1], 0
	v_mov_b32_e32 v17, 0
	s_mov_b64 s[12:13], 0
.LBB1_309:                              ;   Parent Loop BB1_274 Depth=1
                                        ; =>  This Inner Loop Header: Depth=2
	s_add_u32 s16, s10, s12
	s_addc_u32 s17, s11, s13
	global_load_ubyte v6, v26, s[16:17]
	s_add_u32 s12, s12, 1
	s_addc_u32 s13, s13, 0
	s_waitcnt vmcnt(0)
	v_and_b32_e32 v25, 0xffff, v6
	v_lshlrev_b64 v[6:7], s0, v[25:26]
	s_add_u32 s0, s0, 8
	s_addc_u32 s1, s1, 0
	v_or_b32_e32 v16, v6, v16
	s_cmp_lg_u32 s15, s12
	v_or_b32_e32 v17, v7, v17
	s_cbranch_scc1 .LBB1_309
	s_branch .LBB1_312
.LBB1_310:                              ;   in Loop: Header=BB1_274 Depth=1
	s_mov_b32 s14, 0
	s_branch .LBB1_313
.LBB1_311:                              ;   in Loop: Header=BB1_274 Depth=1
	v_mov_b32_e32 v16, 0
	v_mov_b32_e32 v17, 0
.LBB1_312:                              ;   in Loop: Header=BB1_274 Depth=1
	s_mov_b64 s[0:1], s[10:11]
	s_mov_b32 s14, 0
	s_cbranch_execnz .LBB1_314
.LBB1_313:                              ;   in Loop: Header=BB1_274 Depth=1
	global_load_dwordx2 v[16:17], v26, s[10:11]
	s_add_i32 s14, s15, -8
.LBB1_314:                              ;   in Loop: Header=BB1_274 Depth=1
	s_add_u32 s10, s0, 8
	s_addc_u32 s11, s1, 0
	s_cmp_gt_u32 s14, 7
	s_cbranch_scc1 .LBB1_318
; %bb.315:                              ;   in Loop: Header=BB1_274 Depth=1
	s_cmp_eq_u32 s14, 0
	s_cbranch_scc1 .LBB1_319
; %bb.316:                              ;   in Loop: Header=BB1_274 Depth=1
	v_mov_b32_e32 v18, 0
	s_mov_b64 s[10:11], 0
	v_mov_b32_e32 v19, 0
	s_mov_b64 s[12:13], 0
.LBB1_317:                              ;   Parent Loop BB1_274 Depth=1
                                        ; =>  This Inner Loop Header: Depth=2
	s_add_u32 s16, s0, s12
	s_addc_u32 s17, s1, s13
	global_load_ubyte v6, v26, s[16:17]
	s_add_u32 s12, s12, 1
	s_addc_u32 s13, s13, 0
	s_waitcnt vmcnt(0)
	v_and_b32_e32 v25, 0xffff, v6
	v_lshlrev_b64 v[6:7], s10, v[25:26]
	s_add_u32 s10, s10, 8
	s_addc_u32 s11, s11, 0
	v_or_b32_e32 v18, v6, v18
	s_cmp_lg_u32 s14, s12
	v_or_b32_e32 v19, v7, v19
	s_cbranch_scc1 .LBB1_317
	s_branch .LBB1_320
.LBB1_318:                              ;   in Loop: Header=BB1_274 Depth=1
                                        ; implicit-def: $vgpr18_vgpr19
	s_mov_b32 s15, 0
	s_branch .LBB1_321
.LBB1_319:                              ;   in Loop: Header=BB1_274 Depth=1
	v_mov_b32_e32 v18, 0
	v_mov_b32_e32 v19, 0
.LBB1_320:                              ;   in Loop: Header=BB1_274 Depth=1
	s_mov_b64 s[10:11], s[0:1]
	s_mov_b32 s15, 0
	s_cbranch_execnz .LBB1_322
.LBB1_321:                              ;   in Loop: Header=BB1_274 Depth=1
	global_load_dwordx2 v[18:19], v26, s[0:1]
	s_add_i32 s15, s14, -8
.LBB1_322:                              ;   in Loop: Header=BB1_274 Depth=1
	s_cmp_gt_u32 s15, 7
	s_cbranch_scc1 .LBB1_326
; %bb.323:                              ;   in Loop: Header=BB1_274 Depth=1
	s_cmp_eq_u32 s15, 0
	s_cbranch_scc1 .LBB1_327
; %bb.324:                              ;   in Loop: Header=BB1_274 Depth=1
	v_mov_b32_e32 v20, 0
	s_mov_b64 s[0:1], 0
	v_mov_b32_e32 v21, 0
	s_mov_b64 s[12:13], s[10:11]
.LBB1_325:                              ;   Parent Loop BB1_274 Depth=1
                                        ; =>  This Inner Loop Header: Depth=2
	global_load_ubyte v6, v26, s[12:13]
	s_add_i32 s15, s15, -1
	s_waitcnt vmcnt(0)
	v_and_b32_e32 v25, 0xffff, v6
	v_lshlrev_b64 v[6:7], s0, v[25:26]
	s_add_u32 s0, s0, 8
	s_addc_u32 s1, s1, 0
	s_add_u32 s12, s12, 1
	s_addc_u32 s13, s13, 0
	v_or_b32_e32 v20, v6, v20
	s_cmp_lg_u32 s15, 0
	v_or_b32_e32 v21, v7, v21
	s_cbranch_scc1 .LBB1_325
	s_branch .LBB1_328
.LBB1_326:                              ;   in Loop: Header=BB1_274 Depth=1
	s_branch .LBB1_329
.LBB1_327:                              ;   in Loop: Header=BB1_274 Depth=1
	v_mov_b32_e32 v20, 0
	v_mov_b32_e32 v21, 0
.LBB1_328:                              ;   in Loop: Header=BB1_274 Depth=1
	s_cbranch_execnz .LBB1_330
.LBB1_329:                              ;   in Loop: Header=BB1_274 Depth=1
	global_load_dwordx2 v[20:21], v26, s[10:11]
.LBB1_330:                              ;   in Loop: Header=BB1_274 Depth=1
	v_readfirstlane_b32 s0, v32
	v_mov_b32_e32 v6, 0
	v_mov_b32_e32 v7, 0
	v_cmp_eq_u32_e64 s[0:1], s0, v32
	s_and_saveexec_b64 s[10:11], s[0:1]
	s_cbranch_execz .LBB1_336
; %bb.331:                              ;   in Loop: Header=BB1_274 Depth=1
	global_load_dwordx2 v[24:25], v26, s[2:3] offset:24 glc
	s_waitcnt vmcnt(0)
	buffer_wbinvl1_vol
	global_load_dwordx2 v[6:7], v26, s[2:3] offset:40
	global_load_dwordx2 v[22:23], v26, s[2:3]
	s_waitcnt vmcnt(1)
	v_and_b32_e32 v6, v6, v24
	v_and_b32_e32 v7, v7, v25
	v_mul_lo_u32 v7, v7, 24
	v_mul_hi_u32 v27, v6, 24
	v_mul_lo_u32 v6, v6, 24
	v_add_u32_e32 v7, v27, v7
	s_waitcnt vmcnt(0)
	v_add_co_u32_e32 v6, vcc, v22, v6
	v_addc_co_u32_e32 v7, vcc, v23, v7, vcc
	global_load_dwordx2 v[22:23], v[6:7], off glc
	s_waitcnt vmcnt(0)
	global_atomic_cmpswap_x2 v[6:7], v26, v[22:25], s[2:3] offset:24 glc
	s_waitcnt vmcnt(0)
	buffer_wbinvl1_vol
	v_cmp_ne_u64_e32 vcc, v[6:7], v[24:25]
	s_and_saveexec_b64 s[12:13], vcc
	s_cbranch_execz .LBB1_335
; %bb.332:                              ;   in Loop: Header=BB1_274 Depth=1
	s_mov_b64 s[14:15], 0
.LBB1_333:                              ;   Parent Loop BB1_274 Depth=1
                                        ; =>  This Inner Loop Header: Depth=2
	s_sleep 1
	global_load_dwordx2 v[22:23], v26, s[2:3] offset:40
	global_load_dwordx2 v[27:28], v26, s[2:3]
	v_mov_b32_e32 v25, v7
	v_mov_b32_e32 v24, v6
	s_waitcnt vmcnt(1)
	v_and_b32_e32 v6, v22, v24
	s_waitcnt vmcnt(0)
	v_mad_u64_u32 v[6:7], s[16:17], v6, 24, v[27:28]
	v_and_b32_e32 v22, v23, v25
	v_mad_u64_u32 v[22:23], s[16:17], v22, 24, v[7:8]
	v_mov_b32_e32 v7, v22
	global_load_dwordx2 v[22:23], v[6:7], off glc
	s_waitcnt vmcnt(0)
	global_atomic_cmpswap_x2 v[6:7], v26, v[22:25], s[2:3] offset:24 glc
	s_waitcnt vmcnt(0)
	buffer_wbinvl1_vol
	v_cmp_eq_u64_e32 vcc, v[6:7], v[24:25]
	s_or_b64 s[14:15], vcc, s[14:15]
	s_andn2_b64 exec, exec, s[14:15]
	s_cbranch_execnz .LBB1_333
; %bb.334:                              ;   in Loop: Header=BB1_274 Depth=1
	s_or_b64 exec, exec, s[14:15]
.LBB1_335:                              ;   in Loop: Header=BB1_274 Depth=1
	s_or_b64 exec, exec, s[12:13]
.LBB1_336:                              ;   in Loop: Header=BB1_274 Depth=1
	s_or_b64 exec, exec, s[10:11]
	global_load_dwordx2 v[27:28], v26, s[2:3] offset:40
	global_load_dwordx4 v[22:25], v26, s[2:3]
	v_readfirstlane_b32 s11, v7
	v_readfirstlane_b32 s10, v6
	s_mov_b64 s[12:13], exec
	s_waitcnt vmcnt(1)
	v_readfirstlane_b32 s14, v27
	v_readfirstlane_b32 s15, v28
	s_and_b64 s[14:15], s[14:15], s[10:11]
	s_mul_i32 s16, s15, 24
	s_mul_hi_u32 s17, s14, 24
	s_mul_i32 s18, s14, 24
	s_add_i32 s16, s17, s16
	v_mov_b32_e32 v6, s16
	s_waitcnt vmcnt(0)
	v_add_co_u32_e32 v27, vcc, s18, v22
	v_addc_co_u32_e32 v28, vcc, v23, v6, vcc
	s_and_saveexec_b64 s[16:17], s[0:1]
	s_cbranch_execz .LBB1_338
; %bb.337:                              ;   in Loop: Header=BB1_274 Depth=1
	v_mov_b32_e32 v6, s12
	v_mov_b32_e32 v7, s13
	global_store_dwordx4 v[27:28], v[6:9], off offset:8
.LBB1_338:                              ;   in Loop: Header=BB1_274 Depth=1
	s_or_b64 exec, exec, s[16:17]
	s_lshl_b64 s[12:13], s[14:15], 12
	v_mov_b32_e32 v6, s13
	v_add_co_u32_e32 v24, vcc, s12, v24
	v_addc_co_u32_e32 v30, vcc, v25, v6, vcc
	v_cmp_lt_u64_e64 vcc, s[6:7], 57
	s_lshl_b32 s12, s8, 2
	v_cndmask_b32_e32 v6, 0, v29, vcc
	s_add_i32 s12, s12, 28
	v_and_b32_e32 v2, 0xffffff1f, v2
	s_and_b32 s12, s12, 0x1e0
	v_or_b32_e32 v2, v2, v6
	v_or_b32_e32 v2, s12, v2
	v_readfirstlane_b32 s12, v24
	v_readfirstlane_b32 s13, v30
	s_nop 4
	global_store_dwordx4 v31, v[2:5], s[12:13]
	global_store_dwordx4 v31, v[10:13], s[12:13] offset:16
	global_store_dwordx4 v31, v[14:17], s[12:13] offset:32
	;; [unrolled: 1-line block ×3, first 2 shown]
	s_and_saveexec_b64 s[12:13], s[0:1]
	s_cbranch_execz .LBB1_346
; %bb.339:                              ;   in Loop: Header=BB1_274 Depth=1
	global_load_dwordx2 v[12:13], v26, s[2:3] offset:32 glc
	global_load_dwordx2 v[2:3], v26, s[2:3] offset:40
	v_mov_b32_e32 v10, s10
	v_mov_b32_e32 v11, s11
	s_waitcnt vmcnt(0)
	v_readfirstlane_b32 s14, v2
	v_readfirstlane_b32 s15, v3
	s_and_b64 s[14:15], s[14:15], s[10:11]
	s_mul_i32 s15, s15, 24
	s_mul_hi_u32 s16, s14, 24
	s_mul_i32 s14, s14, 24
	s_add_i32 s15, s16, s15
	v_mov_b32_e32 v2, s15
	v_add_co_u32_e32 v6, vcc, s14, v22
	v_addc_co_u32_e32 v7, vcc, v23, v2, vcc
	global_store_dwordx2 v[6:7], v[12:13], off
	s_waitcnt vmcnt(0)
	global_atomic_cmpswap_x2 v[4:5], v26, v[10:13], s[2:3] offset:32 glc
	s_waitcnt vmcnt(0)
	v_cmp_ne_u64_e32 vcc, v[4:5], v[12:13]
	s_and_saveexec_b64 s[14:15], vcc
	s_cbranch_execz .LBB1_342
; %bb.340:                              ;   in Loop: Header=BB1_274 Depth=1
	s_mov_b64 s[16:17], 0
.LBB1_341:                              ;   Parent Loop BB1_274 Depth=1
                                        ; =>  This Inner Loop Header: Depth=2
	s_sleep 1
	global_store_dwordx2 v[6:7], v[4:5], off
	v_mov_b32_e32 v2, s10
	v_mov_b32_e32 v3, s11
	s_waitcnt vmcnt(0)
	global_atomic_cmpswap_x2 v[2:3], v26, v[2:5], s[2:3] offset:32 glc
	s_waitcnt vmcnt(0)
	v_cmp_eq_u64_e32 vcc, v[2:3], v[4:5]
	v_mov_b32_e32 v5, v3
	s_or_b64 s[16:17], vcc, s[16:17]
	v_mov_b32_e32 v4, v2
	s_andn2_b64 exec, exec, s[16:17]
	s_cbranch_execnz .LBB1_341
.LBB1_342:                              ;   in Loop: Header=BB1_274 Depth=1
	s_or_b64 exec, exec, s[14:15]
	global_load_dwordx2 v[2:3], v26, s[2:3] offset:16
	s_mov_b64 s[16:17], exec
	v_mbcnt_lo_u32_b32 v4, s16, 0
	v_mbcnt_hi_u32_b32 v4, s17, v4
	v_cmp_eq_u32_e32 vcc, 0, v4
	s_and_saveexec_b64 s[14:15], vcc
	s_cbranch_execz .LBB1_344
; %bb.343:                              ;   in Loop: Header=BB1_274 Depth=1
	s_bcnt1_i32_b64 s16, s[16:17]
	v_mov_b32_e32 v25, s16
	s_waitcnt vmcnt(0)
	global_atomic_add_x2 v[2:3], v[25:26], off offset:8
.LBB1_344:                              ;   in Loop: Header=BB1_274 Depth=1
	s_or_b64 exec, exec, s[14:15]
	s_waitcnt vmcnt(0)
	global_load_dwordx2 v[4:5], v[2:3], off offset:16
	s_waitcnt vmcnt(0)
	v_cmp_eq_u64_e32 vcc, 0, v[4:5]
	s_cbranch_vccnz .LBB1_346
; %bb.345:                              ;   in Loop: Header=BB1_274 Depth=1
	global_load_dword v25, v[2:3], off offset:24
	s_waitcnt vmcnt(0)
	v_readfirstlane_b32 s14, v25
	s_and_b32 m0, s14, 0xffffff
	global_store_dwordx2 v[4:5], v[25:26], off
	s_sendmsg sendmsg(MSG_INTERRUPT)
.LBB1_346:                              ;   in Loop: Header=BB1_274 Depth=1
	s_or_b64 exec, exec, s[12:13]
	v_add_co_u32_e32 v2, vcc, v24, v31
	v_addc_co_u32_e32 v3, vcc, 0, v30, vcc
	s_branch .LBB1_350
.LBB1_347:                              ;   in Loop: Header=BB1_350 Depth=2
	s_or_b64 exec, exec, s[12:13]
	v_readfirstlane_b32 s12, v4
	s_cmp_eq_u32 s12, 0
	s_cbranch_scc1 .LBB1_349
; %bb.348:                              ;   in Loop: Header=BB1_350 Depth=2
	s_sleep 1
	s_cbranch_execnz .LBB1_350
	s_branch .LBB1_352
.LBB1_349:                              ;   in Loop: Header=BB1_274 Depth=1
	s_branch .LBB1_352
.LBB1_350:                              ;   Parent Loop BB1_274 Depth=1
                                        ; =>  This Inner Loop Header: Depth=2
	v_mov_b32_e32 v4, 1
	s_and_saveexec_b64 s[12:13], s[0:1]
	s_cbranch_execz .LBB1_347
; %bb.351:                              ;   in Loop: Header=BB1_350 Depth=2
	global_load_dword v4, v[27:28], off offset:20 glc
	s_waitcnt vmcnt(0)
	buffer_wbinvl1_vol
	v_and_b32_e32 v4, 1, v4
	s_branch .LBB1_347
.LBB1_352:                              ;   in Loop: Header=BB1_274 Depth=1
	global_load_dwordx2 v[2:3], v[2:3], off
	s_and_saveexec_b64 s[12:13], s[0:1]
	s_cbranch_execz .LBB1_273
; %bb.353:                              ;   in Loop: Header=BB1_274 Depth=1
	global_load_dwordx2 v[4:5], v26, s[2:3] offset:40
	global_load_dwordx2 v[14:15], v26, s[2:3] offset:24 glc
	global_load_dwordx2 v[6:7], v26, s[2:3]
	s_waitcnt vmcnt(2)
	v_readfirstlane_b32 s14, v4
	v_readfirstlane_b32 s15, v5
	s_add_u32 s16, s14, 1
	s_addc_u32 s17, s15, 0
	s_add_u32 s0, s16, s10
	s_addc_u32 s1, s17, s11
	s_cmp_eq_u64 s[0:1], 0
	s_cselect_b32 s1, s17, s1
	s_cselect_b32 s0, s16, s0
	s_and_b64 s[10:11], s[0:1], s[14:15]
	s_mul_i32 s11, s11, 24
	s_mul_hi_u32 s14, s10, 24
	s_mul_i32 s10, s10, 24
	s_add_i32 s11, s14, s11
	v_mov_b32_e32 v4, s11
	s_waitcnt vmcnt(0)
	v_add_co_u32_e32 v10, vcc, s10, v6
	v_addc_co_u32_e32 v11, vcc, v7, v4, vcc
	v_mov_b32_e32 v12, s0
	global_store_dwordx2 v[10:11], v[14:15], off
	v_mov_b32_e32 v13, s1
	s_waitcnt vmcnt(0)
	global_atomic_cmpswap_x2 v[6:7], v26, v[12:15], s[2:3] offset:24 glc
	s_waitcnt vmcnt(0)
	v_cmp_ne_u64_e32 vcc, v[6:7], v[14:15]
	s_and_b64 exec, exec, vcc
	s_cbranch_execz .LBB1_273
; %bb.354:                              ;   in Loop: Header=BB1_274 Depth=1
	s_mov_b64 s[10:11], 0
.LBB1_355:                              ;   Parent Loop BB1_274 Depth=1
                                        ; =>  This Inner Loop Header: Depth=2
	s_sleep 1
	global_store_dwordx2 v[10:11], v[6:7], off
	v_mov_b32_e32 v4, s0
	v_mov_b32_e32 v5, s1
	s_waitcnt vmcnt(0)
	global_atomic_cmpswap_x2 v[4:5], v26, v[4:7], s[2:3] offset:24 glc
	s_waitcnt vmcnt(0)
	v_cmp_eq_u64_e32 vcc, v[4:5], v[6:7]
	v_mov_b32_e32 v7, v5
	s_or_b64 s[10:11], vcc, s[10:11]
	v_mov_b32_e32 v6, v4
	s_andn2_b64 exec, exec, s[10:11]
	s_cbranch_execnz .LBB1_355
	s_branch .LBB1_273
.LBB1_356:
	s_mov_b64 s[0:1], -1
                                        ; implicit-def: $vgpr2_vgpr3
	s_branch .LBB1_358
.LBB1_357:
	s_mov_b64 s[0:1], 0
.LBB1_358:
	s_and_b64 vcc, exec, s[0:1]
	s_cbranch_vccz .LBB1_385
; %bb.359:
	v_readfirstlane_b32 s0, v32
	v_mov_b32_e32 v8, 0
	v_mov_b32_e32 v9, 0
	v_cmp_eq_u32_e64 s[0:1], s0, v32
	s_and_saveexec_b64 s[4:5], s[0:1]
	s_cbranch_execz .LBB1_365
; %bb.360:
	s_waitcnt vmcnt(0)
	v_mov_b32_e32 v2, 0
	global_load_dwordx2 v[5:6], v2, s[2:3] offset:24 glc
	s_waitcnt vmcnt(0)
	buffer_wbinvl1_vol
	global_load_dwordx2 v[3:4], v2, s[2:3] offset:40
	global_load_dwordx2 v[7:8], v2, s[2:3]
	s_waitcnt vmcnt(1)
	v_and_b32_e32 v3, v3, v5
	v_and_b32_e32 v4, v4, v6
	v_mul_lo_u32 v4, v4, 24
	v_mul_hi_u32 v9, v3, 24
	v_mul_lo_u32 v3, v3, 24
	v_add_u32_e32 v4, v9, v4
	s_waitcnt vmcnt(0)
	v_add_co_u32_e32 v3, vcc, v7, v3
	v_addc_co_u32_e32 v4, vcc, v8, v4, vcc
	global_load_dwordx2 v[3:4], v[3:4], off glc
	s_waitcnt vmcnt(0)
	global_atomic_cmpswap_x2 v[8:9], v2, v[3:6], s[2:3] offset:24 glc
	s_waitcnt vmcnt(0)
	buffer_wbinvl1_vol
	v_cmp_ne_u64_e32 vcc, v[8:9], v[5:6]
	s_and_saveexec_b64 s[6:7], vcc
	s_cbranch_execz .LBB1_364
; %bb.361:
	s_mov_b64 s[8:9], 0
.LBB1_362:                              ; =>This Inner Loop Header: Depth=1
	s_sleep 1
	global_load_dwordx2 v[3:4], v2, s[2:3] offset:40
	global_load_dwordx2 v[10:11], v2, s[2:3]
	v_mov_b32_e32 v5, v8
	v_mov_b32_e32 v6, v9
	s_waitcnt vmcnt(1)
	v_and_b32_e32 v3, v3, v5
	s_waitcnt vmcnt(0)
	v_mad_u64_u32 v[7:8], s[10:11], v3, 24, v[10:11]
	v_and_b32_e32 v4, v4, v6
	v_mov_b32_e32 v3, v8
	v_mad_u64_u32 v[3:4], s[10:11], v4, 24, v[3:4]
	v_mov_b32_e32 v8, v3
	global_load_dwordx2 v[3:4], v[7:8], off glc
	s_waitcnt vmcnt(0)
	global_atomic_cmpswap_x2 v[8:9], v2, v[3:6], s[2:3] offset:24 glc
	s_waitcnt vmcnt(0)
	buffer_wbinvl1_vol
	v_cmp_eq_u64_e32 vcc, v[8:9], v[5:6]
	s_or_b64 s[8:9], vcc, s[8:9]
	s_andn2_b64 exec, exec, s[8:9]
	s_cbranch_execnz .LBB1_362
; %bb.363:
	s_or_b64 exec, exec, s[8:9]
.LBB1_364:
	s_or_b64 exec, exec, s[6:7]
.LBB1_365:
	s_or_b64 exec, exec, s[4:5]
	s_waitcnt vmcnt(0)
	v_mov_b32_e32 v2, 0
	global_load_dwordx2 v[10:11], v2, s[2:3] offset:40
	global_load_dwordx4 v[4:7], v2, s[2:3]
	v_readfirstlane_b32 s5, v9
	v_readfirstlane_b32 s4, v8
	s_mov_b64 s[6:7], exec
	s_waitcnt vmcnt(1)
	v_readfirstlane_b32 s8, v10
	v_readfirstlane_b32 s9, v11
	s_and_b64 s[8:9], s[8:9], s[4:5]
	s_mul_i32 s10, s9, 24
	s_mul_hi_u32 s11, s8, 24
	s_mul_i32 s12, s8, 24
	s_add_i32 s10, s11, s10
	v_mov_b32_e32 v3, s10
	s_waitcnt vmcnt(0)
	v_add_co_u32_e32 v8, vcc, s12, v4
	v_addc_co_u32_e32 v9, vcc, v5, v3, vcc
	s_and_saveexec_b64 s[10:11], s[0:1]
	s_cbranch_execz .LBB1_367
; %bb.366:
	v_mov_b32_e32 v11, s7
	v_mov_b32_e32 v10, s6
	;; [unrolled: 1-line block ×4, first 2 shown]
	global_store_dwordx4 v[8:9], v[10:13], off offset:8
.LBB1_367:
	s_or_b64 exec, exec, s[10:11]
	s_lshl_b64 s[6:7], s[8:9], 12
	v_mov_b32_e32 v3, s7
	v_add_co_u32_e32 v10, vcc, s6, v6
	v_addc_co_u32_e32 v11, vcc, v7, v3, vcc
	s_movk_i32 s6, 0xff1f
	v_and_or_b32 v0, v0, s6, 32
	s_mov_b32 s8, 0
	v_mov_b32_e32 v3, v2
	v_readfirstlane_b32 s6, v10
	v_readfirstlane_b32 s7, v11
	v_add_co_u32_e32 v6, vcc, v10, v31
	s_mov_b32 s9, s8
	s_mov_b32 s10, s8
	s_mov_b32 s11, s8
	s_nop 0
	global_store_dwordx4 v31, v[0:3], s[6:7]
	v_addc_co_u32_e32 v7, vcc, 0, v11, vcc
	v_mov_b32_e32 v0, s8
	v_mov_b32_e32 v1, s9
	;; [unrolled: 1-line block ×4, first 2 shown]
	global_store_dwordx4 v31, v[0:3], s[6:7] offset:16
	global_store_dwordx4 v31, v[0:3], s[6:7] offset:32
	;; [unrolled: 1-line block ×3, first 2 shown]
	s_and_saveexec_b64 s[6:7], s[0:1]
	s_cbranch_execz .LBB1_375
; %bb.368:
	v_mov_b32_e32 v10, 0
	global_load_dwordx2 v[13:14], v10, s[2:3] offset:32 glc
	global_load_dwordx2 v[0:1], v10, s[2:3] offset:40
	v_mov_b32_e32 v11, s4
	v_mov_b32_e32 v12, s5
	s_waitcnt vmcnt(0)
	v_readfirstlane_b32 s8, v0
	v_readfirstlane_b32 s9, v1
	s_and_b64 s[8:9], s[8:9], s[4:5]
	s_mul_i32 s9, s9, 24
	s_mul_hi_u32 s10, s8, 24
	s_mul_i32 s8, s8, 24
	s_add_i32 s9, s10, s9
	v_mov_b32_e32 v0, s9
	v_add_co_u32_e32 v4, vcc, s8, v4
	v_addc_co_u32_e32 v5, vcc, v5, v0, vcc
	global_store_dwordx2 v[4:5], v[13:14], off
	s_waitcnt vmcnt(0)
	global_atomic_cmpswap_x2 v[2:3], v10, v[11:14], s[2:3] offset:32 glc
	s_waitcnt vmcnt(0)
	v_cmp_ne_u64_e32 vcc, v[2:3], v[13:14]
	s_and_saveexec_b64 s[8:9], vcc
	s_cbranch_execz .LBB1_371
; %bb.369:
	s_mov_b64 s[10:11], 0
.LBB1_370:                              ; =>This Inner Loop Header: Depth=1
	s_sleep 1
	global_store_dwordx2 v[4:5], v[2:3], off
	v_mov_b32_e32 v0, s4
	v_mov_b32_e32 v1, s5
	s_waitcnt vmcnt(0)
	global_atomic_cmpswap_x2 v[0:1], v10, v[0:3], s[2:3] offset:32 glc
	s_waitcnt vmcnt(0)
	v_cmp_eq_u64_e32 vcc, v[0:1], v[2:3]
	v_mov_b32_e32 v3, v1
	s_or_b64 s[10:11], vcc, s[10:11]
	v_mov_b32_e32 v2, v0
	s_andn2_b64 exec, exec, s[10:11]
	s_cbranch_execnz .LBB1_370
.LBB1_371:
	s_or_b64 exec, exec, s[8:9]
	v_mov_b32_e32 v3, 0
	global_load_dwordx2 v[0:1], v3, s[2:3] offset:16
	s_mov_b64 s[8:9], exec
	v_mbcnt_lo_u32_b32 v2, s8, 0
	v_mbcnt_hi_u32_b32 v2, s9, v2
	v_cmp_eq_u32_e32 vcc, 0, v2
	s_and_saveexec_b64 s[10:11], vcc
	s_cbranch_execz .LBB1_373
; %bb.372:
	s_bcnt1_i32_b64 s8, s[8:9]
	v_mov_b32_e32 v2, s8
	s_waitcnt vmcnt(0)
	global_atomic_add_x2 v[0:1], v[2:3], off offset:8
.LBB1_373:
	s_or_b64 exec, exec, s[10:11]
	s_waitcnt vmcnt(0)
	global_load_dwordx2 v[2:3], v[0:1], off offset:16
	s_waitcnt vmcnt(0)
	v_cmp_eq_u64_e32 vcc, 0, v[2:3]
	s_cbranch_vccnz .LBB1_375
; %bb.374:
	global_load_dword v0, v[0:1], off offset:24
	v_mov_b32_e32 v1, 0
	s_waitcnt vmcnt(0)
	v_readfirstlane_b32 s8, v0
	s_and_b32 m0, s8, 0xffffff
	global_store_dwordx2 v[2:3], v[0:1], off
	s_sendmsg sendmsg(MSG_INTERRUPT)
.LBB1_375:
	s_or_b64 exec, exec, s[6:7]
	s_branch .LBB1_379
.LBB1_376:                              ;   in Loop: Header=BB1_379 Depth=1
	s_or_b64 exec, exec, s[6:7]
	v_readfirstlane_b32 s6, v0
	s_cmp_eq_u32 s6, 0
	s_cbranch_scc1 .LBB1_378
; %bb.377:                              ;   in Loop: Header=BB1_379 Depth=1
	s_sleep 1
	s_cbranch_execnz .LBB1_379
	s_branch .LBB1_381
.LBB1_378:
	s_branch .LBB1_381
.LBB1_379:                              ; =>This Inner Loop Header: Depth=1
	v_mov_b32_e32 v0, 1
	s_and_saveexec_b64 s[6:7], s[0:1]
	s_cbranch_execz .LBB1_376
; %bb.380:                              ;   in Loop: Header=BB1_379 Depth=1
	global_load_dword v0, v[8:9], off offset:20 glc
	s_waitcnt vmcnt(0)
	buffer_wbinvl1_vol
	v_and_b32_e32 v0, 1, v0
	s_branch .LBB1_376
.LBB1_381:
	global_load_dwordx2 v[2:3], v[6:7], off
	s_and_saveexec_b64 s[6:7], s[0:1]
	s_cbranch_execz .LBB1_384
; %bb.382:
	v_mov_b32_e32 v8, 0
	global_load_dwordx2 v[0:1], v8, s[2:3] offset:40
	global_load_dwordx2 v[11:12], v8, s[2:3] offset:24 glc
	global_load_dwordx2 v[4:5], v8, s[2:3]
	s_waitcnt vmcnt(2)
	v_readfirstlane_b32 s8, v0
	v_readfirstlane_b32 s9, v1
	s_add_u32 s10, s8, 1
	s_addc_u32 s11, s9, 0
	s_add_u32 s0, s10, s4
	s_addc_u32 s1, s11, s5
	s_cmp_eq_u64 s[0:1], 0
	s_cselect_b32 s1, s11, s1
	s_cselect_b32 s0, s10, s0
	s_and_b64 s[4:5], s[0:1], s[8:9]
	s_mul_i32 s5, s5, 24
	s_mul_hi_u32 s8, s4, 24
	s_mul_i32 s4, s4, 24
	s_add_i32 s5, s8, s5
	v_mov_b32_e32 v1, s5
	s_waitcnt vmcnt(0)
	v_add_co_u32_e32 v0, vcc, s4, v4
	v_addc_co_u32_e32 v1, vcc, v5, v1, vcc
	v_mov_b32_e32 v9, s0
	global_store_dwordx2 v[0:1], v[11:12], off
	v_mov_b32_e32 v10, s1
	s_waitcnt vmcnt(0)
	global_atomic_cmpswap_x2 v[6:7], v8, v[9:12], s[2:3] offset:24 glc
	s_mov_b64 s[4:5], 0
	s_waitcnt vmcnt(0)
	v_cmp_ne_u64_e32 vcc, v[6:7], v[11:12]
	s_and_b64 exec, exec, vcc
	s_cbranch_execz .LBB1_384
.LBB1_383:                              ; =>This Inner Loop Header: Depth=1
	s_sleep 1
	global_store_dwordx2 v[0:1], v[6:7], off
	v_mov_b32_e32 v4, s0
	v_mov_b32_e32 v5, s1
	s_waitcnt vmcnt(0)
	global_atomic_cmpswap_x2 v[4:5], v8, v[4:7], s[2:3] offset:24 glc
	s_waitcnt vmcnt(0)
	v_cmp_eq_u64_e32 vcc, v[4:5], v[6:7]
	v_mov_b32_e32 v7, v5
	s_or_b64 s[4:5], vcc, s[4:5]
	v_mov_b32_e32 v6, v4
	s_andn2_b64 exec, exec, s[4:5]
	s_cbranch_execnz .LBB1_383
.LBB1_384:
	s_or_b64 exec, exec, s[6:7]
.LBB1_385:
	v_readfirstlane_b32 s0, v32
	s_waitcnt vmcnt(0)
	v_mov_b32_e32 v0, 0
	v_mov_b32_e32 v1, 0
	v_cmp_eq_u32_e64 s[0:1], s0, v32
	s_and_saveexec_b64 s[4:5], s[0:1]
	s_cbranch_execz .LBB1_391
; %bb.386:
	v_mov_b32_e32 v4, 0
	global_load_dwordx2 v[7:8], v4, s[2:3] offset:24 glc
	s_waitcnt vmcnt(0)
	buffer_wbinvl1_vol
	global_load_dwordx2 v[0:1], v4, s[2:3] offset:40
	global_load_dwordx2 v[5:6], v4, s[2:3]
	s_waitcnt vmcnt(1)
	v_and_b32_e32 v0, v0, v7
	v_and_b32_e32 v1, v1, v8
	v_mul_lo_u32 v1, v1, 24
	v_mul_hi_u32 v9, v0, 24
	v_mul_lo_u32 v0, v0, 24
	v_add_u32_e32 v1, v9, v1
	s_waitcnt vmcnt(0)
	v_add_co_u32_e32 v0, vcc, v5, v0
	v_addc_co_u32_e32 v1, vcc, v6, v1, vcc
	global_load_dwordx2 v[5:6], v[0:1], off glc
	s_waitcnt vmcnt(0)
	global_atomic_cmpswap_x2 v[0:1], v4, v[5:8], s[2:3] offset:24 glc
	s_waitcnt vmcnt(0)
	buffer_wbinvl1_vol
	v_cmp_ne_u64_e32 vcc, v[0:1], v[7:8]
	s_and_saveexec_b64 s[6:7], vcc
	s_cbranch_execz .LBB1_390
; %bb.387:
	s_mov_b64 s[8:9], 0
.LBB1_388:                              ; =>This Inner Loop Header: Depth=1
	s_sleep 1
	global_load_dwordx2 v[5:6], v4, s[2:3] offset:40
	global_load_dwordx2 v[9:10], v4, s[2:3]
	v_mov_b32_e32 v8, v1
	v_mov_b32_e32 v7, v0
	s_waitcnt vmcnt(1)
	v_and_b32_e32 v0, v5, v7
	s_waitcnt vmcnt(0)
	v_mad_u64_u32 v[0:1], s[10:11], v0, 24, v[9:10]
	v_and_b32_e32 v5, v6, v8
	v_mad_u64_u32 v[5:6], s[10:11], v5, 24, v[1:2]
	v_mov_b32_e32 v1, v5
	global_load_dwordx2 v[5:6], v[0:1], off glc
	s_waitcnt vmcnt(0)
	global_atomic_cmpswap_x2 v[0:1], v4, v[5:8], s[2:3] offset:24 glc
	s_waitcnt vmcnt(0)
	buffer_wbinvl1_vol
	v_cmp_eq_u64_e32 vcc, v[0:1], v[7:8]
	s_or_b64 s[8:9], vcc, s[8:9]
	s_andn2_b64 exec, exec, s[8:9]
	s_cbranch_execnz .LBB1_388
; %bb.389:
	s_or_b64 exec, exec, s[8:9]
.LBB1_390:
	s_or_b64 exec, exec, s[6:7]
.LBB1_391:
	s_or_b64 exec, exec, s[4:5]
	v_mov_b32_e32 v5, 0
	global_load_dwordx2 v[10:11], v5, s[2:3] offset:40
	global_load_dwordx4 v[6:9], v5, s[2:3]
	v_readfirstlane_b32 s5, v1
	v_readfirstlane_b32 s4, v0
	s_mov_b64 s[6:7], exec
	s_waitcnt vmcnt(1)
	v_readfirstlane_b32 s8, v10
	v_readfirstlane_b32 s9, v11
	s_and_b64 s[8:9], s[8:9], s[4:5]
	s_mul_i32 s10, s9, 24
	s_mul_hi_u32 s11, s8, 24
	s_mul_i32 s12, s8, 24
	s_add_i32 s10, s11, s10
	v_mov_b32_e32 v0, s10
	s_waitcnt vmcnt(0)
	v_add_co_u32_e32 v10, vcc, s12, v6
	v_addc_co_u32_e32 v11, vcc, v7, v0, vcc
	s_and_saveexec_b64 s[10:11], s[0:1]
	s_cbranch_execz .LBB1_393
; %bb.392:
	v_mov_b32_e32 v13, s7
	v_mov_b32_e32 v12, s6
	;; [unrolled: 1-line block ×4, first 2 shown]
	global_store_dwordx4 v[10:11], v[12:15], off offset:8
.LBB1_393:
	s_or_b64 exec, exec, s[10:11]
	s_lshl_b64 s[6:7], s[8:9], 12
	v_mov_b32_e32 v0, s7
	v_add_co_u32_e32 v1, vcc, s6, v8
	v_addc_co_u32_e32 v0, vcc, v9, v0, vcc
	s_movk_i32 s6, 0xff1d
	v_and_or_b32 v2, v2, s6, 34
	s_mov_b32 s8, 0
	v_mov_b32_e32 v4, 0x48
	v_readfirstlane_b32 s6, v1
	v_readfirstlane_b32 s7, v0
	s_mov_b32 s9, s8
	s_mov_b32 s10, s8
	;; [unrolled: 1-line block ×3, first 2 shown]
	s_nop 1
	global_store_dwordx4 v31, v[2:5], s[6:7]
	v_mov_b32_e32 v0, s8
	v_mov_b32_e32 v1, s9
	;; [unrolled: 1-line block ×4, first 2 shown]
	global_store_dwordx4 v31, v[0:3], s[6:7] offset:16
	global_store_dwordx4 v31, v[0:3], s[6:7] offset:32
	;; [unrolled: 1-line block ×3, first 2 shown]
	s_and_saveexec_b64 s[6:7], s[0:1]
	s_cbranch_execz .LBB1_401
; %bb.394:
	v_mov_b32_e32 v8, 0
	global_load_dwordx2 v[14:15], v8, s[2:3] offset:32 glc
	global_load_dwordx2 v[0:1], v8, s[2:3] offset:40
	v_mov_b32_e32 v12, s4
	v_mov_b32_e32 v13, s5
	s_waitcnt vmcnt(0)
	v_readfirstlane_b32 s8, v0
	v_readfirstlane_b32 s9, v1
	s_and_b64 s[8:9], s[8:9], s[4:5]
	s_mul_i32 s9, s9, 24
	s_mul_hi_u32 s10, s8, 24
	s_mul_i32 s8, s8, 24
	s_add_i32 s9, s10, s9
	v_mov_b32_e32 v0, s9
	v_add_co_u32_e32 v4, vcc, s8, v6
	v_addc_co_u32_e32 v5, vcc, v7, v0, vcc
	global_store_dwordx2 v[4:5], v[14:15], off
	s_waitcnt vmcnt(0)
	global_atomic_cmpswap_x2 v[2:3], v8, v[12:15], s[2:3] offset:32 glc
	s_waitcnt vmcnt(0)
	v_cmp_ne_u64_e32 vcc, v[2:3], v[14:15]
	s_and_saveexec_b64 s[8:9], vcc
	s_cbranch_execz .LBB1_397
; %bb.395:
	s_mov_b64 s[10:11], 0
.LBB1_396:                              ; =>This Inner Loop Header: Depth=1
	s_sleep 1
	global_store_dwordx2 v[4:5], v[2:3], off
	v_mov_b32_e32 v0, s4
	v_mov_b32_e32 v1, s5
	s_waitcnt vmcnt(0)
	global_atomic_cmpswap_x2 v[0:1], v8, v[0:3], s[2:3] offset:32 glc
	s_waitcnt vmcnt(0)
	v_cmp_eq_u64_e32 vcc, v[0:1], v[2:3]
	v_mov_b32_e32 v3, v1
	s_or_b64 s[10:11], vcc, s[10:11]
	v_mov_b32_e32 v2, v0
	s_andn2_b64 exec, exec, s[10:11]
	s_cbranch_execnz .LBB1_396
.LBB1_397:
	s_or_b64 exec, exec, s[8:9]
	v_mov_b32_e32 v3, 0
	global_load_dwordx2 v[0:1], v3, s[2:3] offset:16
	s_mov_b64 s[8:9], exec
	v_mbcnt_lo_u32_b32 v2, s8, 0
	v_mbcnt_hi_u32_b32 v2, s9, v2
	v_cmp_eq_u32_e32 vcc, 0, v2
	s_and_saveexec_b64 s[10:11], vcc
	s_cbranch_execz .LBB1_399
; %bb.398:
	s_bcnt1_i32_b64 s8, s[8:9]
	v_mov_b32_e32 v2, s8
	s_waitcnt vmcnt(0)
	global_atomic_add_x2 v[0:1], v[2:3], off offset:8
.LBB1_399:
	s_or_b64 exec, exec, s[10:11]
	s_waitcnt vmcnt(0)
	global_load_dwordx2 v[2:3], v[0:1], off offset:16
	s_waitcnt vmcnt(0)
	v_cmp_eq_u64_e32 vcc, 0, v[2:3]
	s_cbranch_vccnz .LBB1_401
; %bb.400:
	global_load_dword v0, v[0:1], off offset:24
	v_mov_b32_e32 v1, 0
	s_waitcnt vmcnt(0)
	v_readfirstlane_b32 s8, v0
	s_and_b32 m0, s8, 0xffffff
	global_store_dwordx2 v[2:3], v[0:1], off
	s_sendmsg sendmsg(MSG_INTERRUPT)
.LBB1_401:
	s_or_b64 exec, exec, s[6:7]
	s_branch .LBB1_405
.LBB1_402:                              ;   in Loop: Header=BB1_405 Depth=1
	s_or_b64 exec, exec, s[6:7]
	v_readfirstlane_b32 s6, v0
	s_cmp_eq_u32 s6, 0
	s_cbranch_scc1 .LBB1_404
; %bb.403:                              ;   in Loop: Header=BB1_405 Depth=1
	s_sleep 1
	s_cbranch_execnz .LBB1_405
	s_branch .LBB1_407
.LBB1_404:
	s_branch .LBB1_407
.LBB1_405:                              ; =>This Inner Loop Header: Depth=1
	v_mov_b32_e32 v0, 1
	s_and_saveexec_b64 s[6:7], s[0:1]
	s_cbranch_execz .LBB1_402
; %bb.406:                              ;   in Loop: Header=BB1_405 Depth=1
	global_load_dword v0, v[10:11], off offset:20 glc
	s_waitcnt vmcnt(0)
	buffer_wbinvl1_vol
	v_and_b32_e32 v0, 1, v0
	s_branch .LBB1_402
.LBB1_407:
	s_and_saveexec_b64 s[6:7], s[0:1]
	s_cbranch_execz .LBB1_410
; %bb.408:
	v_mov_b32_e32 v6, 0
	global_load_dwordx2 v[0:1], v6, s[2:3] offset:40
	global_load_dwordx2 v[9:10], v6, s[2:3] offset:24 glc
	global_load_dwordx2 v[2:3], v6, s[2:3]
	s_waitcnt vmcnt(2)
	v_readfirstlane_b32 s8, v0
	v_readfirstlane_b32 s9, v1
	s_add_u32 s10, s8, 1
	s_addc_u32 s11, s9, 0
	s_add_u32 s0, s10, s4
	s_addc_u32 s1, s11, s5
	s_cmp_eq_u64 s[0:1], 0
	s_cselect_b32 s1, s11, s1
	s_cselect_b32 s0, s10, s0
	s_and_b64 s[4:5], s[0:1], s[8:9]
	s_mul_i32 s5, s5, 24
	s_mul_hi_u32 s8, s4, 24
	s_mul_i32 s4, s4, 24
	s_add_i32 s5, s8, s5
	v_mov_b32_e32 v0, s5
	s_waitcnt vmcnt(0)
	v_add_co_u32_e32 v4, vcc, s4, v2
	v_addc_co_u32_e32 v5, vcc, v3, v0, vcc
	v_mov_b32_e32 v7, s0
	global_store_dwordx2 v[4:5], v[9:10], off
	v_mov_b32_e32 v8, s1
	s_waitcnt vmcnt(0)
	global_atomic_cmpswap_x2 v[2:3], v6, v[7:10], s[2:3] offset:24 glc
	s_mov_b64 s[4:5], 0
	s_waitcnt vmcnt(0)
	v_cmp_ne_u64_e32 vcc, v[2:3], v[9:10]
	s_and_b64 exec, exec, vcc
	s_cbranch_execz .LBB1_410
.LBB1_409:                              ; =>This Inner Loop Header: Depth=1
	s_sleep 1
	global_store_dwordx2 v[4:5], v[2:3], off
	v_mov_b32_e32 v0, s0
	v_mov_b32_e32 v1, s1
	s_waitcnt vmcnt(0)
	global_atomic_cmpswap_x2 v[0:1], v6, v[0:3], s[2:3] offset:24 glc
	s_waitcnt vmcnt(0)
	v_cmp_eq_u64_e32 vcc, v[0:1], v[2:3]
	v_mov_b32_e32 v3, v1
	s_or_b64 s[4:5], vcc, s[4:5]
	v_mov_b32_e32 v2, v0
	s_andn2_b64 exec, exec, s[4:5]
	s_cbranch_execnz .LBB1_409
.LBB1_410:
	s_or_b64 exec, exec, s[6:7]
	s_trap 2
	; divergent unreachable
	s_endpgm
	.section	.rodata,"a",@progbits
	.p2align	6, 0x0
	.amdhsa_kernel _ZN9rocsparseL39csr2csr_compress_fill_warp_start_deviceILj256ELj32ELj2EfEEviPKT2_PjS1_
		.amdhsa_group_segment_fixed_size 0
		.amdhsa_private_segment_fixed_size 0
		.amdhsa_kernarg_size 288
		.amdhsa_user_sgpr_count 6
		.amdhsa_user_sgpr_private_segment_buffer 1
		.amdhsa_user_sgpr_dispatch_ptr 0
		.amdhsa_user_sgpr_queue_ptr 0
		.amdhsa_user_sgpr_kernarg_segment_ptr 1
		.amdhsa_user_sgpr_dispatch_id 0
		.amdhsa_user_sgpr_flat_scratch_init 0
		.amdhsa_user_sgpr_private_segment_size 0
		.amdhsa_uses_dynamic_stack 0
		.amdhsa_system_sgpr_private_segment_wavefront_offset 0
		.amdhsa_system_sgpr_workgroup_id_x 1
		.amdhsa_system_sgpr_workgroup_id_y 0
		.amdhsa_system_sgpr_workgroup_id_z 0
		.amdhsa_system_sgpr_workgroup_info 0
		.amdhsa_system_vgpr_workitem_id 0
		.amdhsa_next_free_vgpr 34
		.amdhsa_next_free_sgpr 19
		.amdhsa_reserve_vcc 1
		.amdhsa_reserve_flat_scratch 0
		.amdhsa_float_round_mode_32 0
		.amdhsa_float_round_mode_16_64 0
		.amdhsa_float_denorm_mode_32 3
		.amdhsa_float_denorm_mode_16_64 3
		.amdhsa_dx10_clamp 1
		.amdhsa_ieee_mode 1
		.amdhsa_fp16_overflow 0
		.amdhsa_exception_fp_ieee_invalid_op 0
		.amdhsa_exception_fp_denorm_src 0
		.amdhsa_exception_fp_ieee_div_zero 0
		.amdhsa_exception_fp_ieee_overflow 0
		.amdhsa_exception_fp_ieee_underflow 0
		.amdhsa_exception_fp_ieee_inexact 0
		.amdhsa_exception_int_div_zero 0
	.end_amdhsa_kernel
	.section	.text._ZN9rocsparseL39csr2csr_compress_fill_warp_start_deviceILj256ELj32ELj2EfEEviPKT2_PjS1_,"axG",@progbits,_ZN9rocsparseL39csr2csr_compress_fill_warp_start_deviceILj256ELj32ELj2EfEEviPKT2_PjS1_,comdat
.Lfunc_end1:
	.size	_ZN9rocsparseL39csr2csr_compress_fill_warp_start_deviceILj256ELj32ELj2EfEEviPKT2_PjS1_, .Lfunc_end1-_ZN9rocsparseL39csr2csr_compress_fill_warp_start_deviceILj256ELj32ELj2EfEEviPKT2_PjS1_
                                        ; -- End function
	.set _ZN9rocsparseL39csr2csr_compress_fill_warp_start_deviceILj256ELj32ELj2EfEEviPKT2_PjS1_.num_vgpr, 34
	.set _ZN9rocsparseL39csr2csr_compress_fill_warp_start_deviceILj256ELj32ELj2EfEEviPKT2_PjS1_.num_agpr, 0
	.set _ZN9rocsparseL39csr2csr_compress_fill_warp_start_deviceILj256ELj32ELj2EfEEviPKT2_PjS1_.numbered_sgpr, 19
	.set _ZN9rocsparseL39csr2csr_compress_fill_warp_start_deviceILj256ELj32ELj2EfEEviPKT2_PjS1_.num_named_barrier, 0
	.set _ZN9rocsparseL39csr2csr_compress_fill_warp_start_deviceILj256ELj32ELj2EfEEviPKT2_PjS1_.private_seg_size, 0
	.set _ZN9rocsparseL39csr2csr_compress_fill_warp_start_deviceILj256ELj32ELj2EfEEviPKT2_PjS1_.uses_vcc, 1
	.set _ZN9rocsparseL39csr2csr_compress_fill_warp_start_deviceILj256ELj32ELj2EfEEviPKT2_PjS1_.uses_flat_scratch, 0
	.set _ZN9rocsparseL39csr2csr_compress_fill_warp_start_deviceILj256ELj32ELj2EfEEviPKT2_PjS1_.has_dyn_sized_stack, 0
	.set _ZN9rocsparseL39csr2csr_compress_fill_warp_start_deviceILj256ELj32ELj2EfEEviPKT2_PjS1_.has_recursion, 0
	.set _ZN9rocsparseL39csr2csr_compress_fill_warp_start_deviceILj256ELj32ELj2EfEEviPKT2_PjS1_.has_indirect_call, 0
	.section	.AMDGPU.csdata,"",@progbits
; Kernel info:
; codeLenInByte = 13368
; TotalNumSgprs: 23
; NumVgprs: 34
; ScratchSize: 0
; MemoryBound: 0
; FloatMode: 240
; IeeeMode: 1
; LDSByteSize: 0 bytes/workgroup (compile time only)
; SGPRBlocks: 2
; VGPRBlocks: 8
; NumSGPRsForWavesPerEU: 23
; NumVGPRsForWavesPerEU: 34
; Occupancy: 7
; WaveLimiterHint : 1
; COMPUTE_PGM_RSRC2:SCRATCH_EN: 0
; COMPUTE_PGM_RSRC2:USER_SGPR: 6
; COMPUTE_PGM_RSRC2:TRAP_HANDLER: 0
; COMPUTE_PGM_RSRC2:TGID_X_EN: 1
; COMPUTE_PGM_RSRC2:TGID_Y_EN: 0
; COMPUTE_PGM_RSRC2:TGID_Z_EN: 0
; COMPUTE_PGM_RSRC2:TIDIG_COMP_CNT: 0
	.section	.text._ZN9rocsparseL39csr2csr_compress_fill_warp_start_deviceILj256ELj64ELj2EfEEviPKT2_PjS1_,"axG",@progbits,_ZN9rocsparseL39csr2csr_compress_fill_warp_start_deviceILj256ELj64ELj2EfEEviPKT2_PjS1_,comdat
	.globl	_ZN9rocsparseL39csr2csr_compress_fill_warp_start_deviceILj256ELj64ELj2EfEEviPKT2_PjS1_ ; -- Begin function _ZN9rocsparseL39csr2csr_compress_fill_warp_start_deviceILj256ELj64ELj2EfEEviPKT2_PjS1_
	.p2align	8
	.type	_ZN9rocsparseL39csr2csr_compress_fill_warp_start_deviceILj256ELj64ELj2EfEEviPKT2_PjS1_,@function
_ZN9rocsparseL39csr2csr_compress_fill_warp_start_deviceILj256ELj64ELj2EfEEviPKT2_PjS1_: ; @_ZN9rocsparseL39csr2csr_compress_fill_warp_start_deviceILj256ELj64ELj2EfEEviPKT2_PjS1_
; %bb.0:
	s_load_dwordx4 s[8:11], s[4:5], 0x8
	v_lshl_or_b32 v2, s6, 9, v0
	v_cmp_eq_u32_e32 vcc, 0, v2
	s_and_saveexec_b64 s[0:1], vcc
	s_cbranch_execz .LBB2_2
; %bb.1:
	v_mov_b32_e32 v1, 0
	s_waitcnt lgkmcnt(0)
	global_store_dword v1, v1, s[10:11]
.LBB2_2:
	s_or_b64 exec, exec, s[0:1]
	s_load_dword s18, s[4:5], 0x0
	s_load_dword s16, s[4:5], 0x18
	v_lshrrev_b32_e32 v0, 6, v0
	v_lshl_or_b32 v0, s6, 3, v0
	s_mov_b64 s[6:7], 0
	s_waitcnt lgkmcnt(0)
	s_add_i32 s0, s18, -1
	v_cmp_gt_i32_e32 vcc, s18, v2
	s_lshr_b32 s17, s0, 6
	s_mov_b64 s[0:1], -1
	s_and_saveexec_b64 s[12:13], vcc
	s_cbranch_execnz .LBB2_6
; %bb.3:
	s_or_b64 exec, exec, s[12:13]
	s_and_saveexec_b64 s[12:13], s[0:1]
	s_cbranch_execnz .LBB2_9
.LBB2_4:
	s_or_b64 exec, exec, s[12:13]
	s_and_saveexec_b64 s[0:1], s[6:7]
	s_xor_b64 s[0:1], exec, s[0:1]
	s_cbranch_execnz .LBB2_14
.LBB2_5:
	s_endpgm
.LBB2_6:
	v_ashrrev_i32_e32 v3, 31, v2
	v_lshlrev_b64 v[3:4], 2, v[2:3]
	v_mov_b32_e32 v1, s9
	v_add_co_u32_e32 v3, vcc, s8, v3
	v_addc_co_u32_e32 v4, vcc, v1, v4, vcc
	global_load_dword v1, v[3:4], off glc slc
	s_mov_b32 s2, 0x800000
	v_cmp_ge_u32_e64 s[0:1], s17, v0
	s_mov_b64 s[14:15], 0
	s_mov_b64 s[6:7], -1
	s_waitcnt vmcnt(0)
	v_cmp_gt_f32_e32 vcc, 0, v1
	v_cndmask_b32_e64 v1, v1, -v1, vcc
	v_cmp_lt_f32_e32 vcc, s16, v1
	v_cmp_lt_f32_e64 s[2:3], s2, v1
	s_and_b64 s[2:3], vcc, s[2:3]
	v_cndmask_b32_e64 v1, 0, 1, s[2:3]
	v_cmp_ne_u32_e32 vcc, 0, v1
	s_and_saveexec_b64 s[2:3], s[0:1]
	s_cbranch_execz .LBB2_8
; %bb.7:
	v_mov_b32_e32 v1, 0
	v_lshlrev_b64 v[3:4], 2, v[0:1]
	s_bcnt1_i32_b64 s0, vcc
	v_mov_b32_e32 v1, s11
	v_add_co_u32_e32 v3, vcc, s10, v3
	s_mov_b64 s[14:15], exec
	v_addc_co_u32_e32 v4, vcc, v1, v4, vcc
	v_mov_b32_e32 v1, s0
	s_xor_b64 s[6:7], exec, -1
	global_store_dword v[3:4], v1, off offset:4
.LBB2_8:
	s_or_b64 exec, exec, s[2:3]
	s_and_b64 s[6:7], s[6:7], exec
	s_orn2_b64 s[0:1], s[14:15], exec
	s_or_b64 exec, exec, s[12:13]
	s_and_saveexec_b64 s[12:13], s[0:1]
	s_cbranch_execz .LBB2_4
.LBB2_9:
	v_add_u32_e32 v1, 0x100, v2
	v_cmp_gt_i32_e32 vcc, s18, v1
	s_mov_b64 s[0:1], s[6:7]
	s_and_saveexec_b64 s[14:15], vcc
	s_cbranch_execz .LBB2_13
; %bb.10:
	v_ashrrev_i32_e32 v3, 31, v2
	v_lshlrev_b64 v[1:2], 2, v[2:3]
	v_mov_b32_e32 v3, s9
	v_add_co_u32_e32 v1, vcc, s8, v1
	v_addc_co_u32_e32 v2, vcc, v3, v2, vcc
	global_load_dword v1, v[1:2], off offset:1024 glc slc
	s_mov_b32 s2, 0x800000
	v_add_u32_e32 v0, 4, v0
	v_cmp_ge_u32_e64 s[0:1], s17, v0
	s_waitcnt vmcnt(0)
	v_cmp_gt_f32_e32 vcc, 0, v1
	v_cndmask_b32_e64 v1, v1, -v1, vcc
	v_cmp_lt_f32_e32 vcc, s16, v1
	v_cmp_lt_f32_e64 s[2:3], s2, v1
	s_and_b64 s[2:3], vcc, s[2:3]
	v_cndmask_b32_e64 v1, 0, 1, s[2:3]
	v_cmp_ne_u32_e32 vcc, 0, v1
	s_mov_b64 s[2:3], -1
	s_and_saveexec_b64 s[8:9], s[0:1]
	s_xor_b64 s[0:1], exec, s[8:9]
	s_cbranch_execz .LBB2_12
; %bb.11:
	v_mov_b32_e32 v1, 0
	v_lshlrev_b64 v[0:1], 2, v[0:1]
	s_bcnt1_i32_b64 s2, vcc
	v_mov_b32_e32 v2, s11
	v_add_co_u32_e32 v0, vcc, s10, v0
	v_addc_co_u32_e32 v1, vcc, v2, v1, vcc
	v_mov_b32_e32 v2, s2
	global_store_dword v[0:1], v2, off offset:4
	s_xor_b64 s[2:3], exec, -1
.LBB2_12:
	s_or_b64 exec, exec, s[0:1]
	s_andn2_b64 s[0:1], s[6:7], exec
	s_and_b64 s[2:3], s[2:3], exec
	s_or_b64 s[0:1], s[0:1], s[2:3]
.LBB2_13:
	s_or_b64 exec, exec, s[14:15]
	s_andn2_b64 s[2:3], s[6:7], exec
	s_and_b64 s[0:1], s[0:1], exec
	s_or_b64 s[6:7], s[2:3], s[0:1]
	s_or_b64 exec, exec, s[12:13]
	s_and_saveexec_b64 s[0:1], s[6:7]
	s_xor_b64 s[0:1], exec, s[0:1]
	s_cbranch_execz .LBB2_5
.LBB2_14:
	s_load_dwordx2 s[2:3], s[4:5], 0x70
	v_mbcnt_lo_u32_b32 v0, -1, 0
	v_mbcnt_hi_u32_b32 v32, -1, v0
	v_readfirstlane_b32 s0, v32
	v_mov_b32_e32 v5, 0
	v_mov_b32_e32 v6, 0
	v_cmp_eq_u32_e64 s[0:1], s0, v32
	s_and_saveexec_b64 s[4:5], s[0:1]
	s_cbranch_execz .LBB2_20
; %bb.15:
	v_mov_b32_e32 v0, 0
	s_waitcnt lgkmcnt(0)
	global_load_dwordx2 v[3:4], v0, s[2:3] offset:24 glc
	s_waitcnt vmcnt(0)
	buffer_wbinvl1_vol
	global_load_dwordx2 v[1:2], v0, s[2:3] offset:40
	global_load_dwordx2 v[5:6], v0, s[2:3]
	s_waitcnt vmcnt(1)
	v_and_b32_e32 v1, v1, v3
	v_and_b32_e32 v2, v2, v4
	v_mul_lo_u32 v2, v2, 24
	v_mul_hi_u32 v7, v1, 24
	v_mul_lo_u32 v1, v1, 24
	v_add_u32_e32 v2, v7, v2
	s_waitcnt vmcnt(0)
	v_add_co_u32_e32 v1, vcc, v5, v1
	v_addc_co_u32_e32 v2, vcc, v6, v2, vcc
	global_load_dwordx2 v[1:2], v[1:2], off glc
	s_waitcnt vmcnt(0)
	global_atomic_cmpswap_x2 v[5:6], v0, v[1:4], s[2:3] offset:24 glc
	s_waitcnt vmcnt(0)
	buffer_wbinvl1_vol
	v_cmp_ne_u64_e32 vcc, v[5:6], v[3:4]
	s_and_saveexec_b64 s[6:7], vcc
	s_cbranch_execz .LBB2_19
; %bb.16:
	s_mov_b64 s[8:9], 0
.LBB2_17:                               ; =>This Inner Loop Header: Depth=1
	s_sleep 1
	global_load_dwordx2 v[1:2], v0, s[2:3] offset:40
	global_load_dwordx2 v[7:8], v0, s[2:3]
	v_mov_b32_e32 v3, v5
	v_mov_b32_e32 v4, v6
	s_waitcnt vmcnt(1)
	v_and_b32_e32 v1, v1, v3
	s_waitcnt vmcnt(0)
	v_mad_u64_u32 v[5:6], s[10:11], v1, 24, v[7:8]
	v_and_b32_e32 v2, v2, v4
	v_mov_b32_e32 v1, v6
	v_mad_u64_u32 v[1:2], s[10:11], v2, 24, v[1:2]
	v_mov_b32_e32 v6, v1
	global_load_dwordx2 v[1:2], v[5:6], off glc
	s_waitcnt vmcnt(0)
	global_atomic_cmpswap_x2 v[5:6], v0, v[1:4], s[2:3] offset:24 glc
	s_waitcnt vmcnt(0)
	buffer_wbinvl1_vol
	v_cmp_eq_u64_e32 vcc, v[5:6], v[3:4]
	s_or_b64 s[8:9], vcc, s[8:9]
	s_andn2_b64 exec, exec, s[8:9]
	s_cbranch_execnz .LBB2_17
; %bb.18:
	s_or_b64 exec, exec, s[8:9]
.LBB2_19:
	s_or_b64 exec, exec, s[6:7]
.LBB2_20:
	s_or_b64 exec, exec, s[4:5]
	v_mov_b32_e32 v4, 0
	s_waitcnt lgkmcnt(0)
	global_load_dwordx2 v[7:8], v4, s[2:3] offset:40
	global_load_dwordx4 v[0:3], v4, s[2:3]
	v_readfirstlane_b32 s5, v6
	v_readfirstlane_b32 s4, v5
	s_mov_b64 s[6:7], exec
	s_waitcnt vmcnt(1)
	v_readfirstlane_b32 s8, v7
	v_readfirstlane_b32 s9, v8
	s_and_b64 s[8:9], s[8:9], s[4:5]
	s_mul_i32 s10, s9, 24
	s_mul_hi_u32 s11, s8, 24
	s_mul_i32 s12, s8, 24
	s_add_i32 s10, s11, s10
	v_mov_b32_e32 v5, s10
	s_waitcnt vmcnt(0)
	v_add_co_u32_e32 v7, vcc, s12, v0
	v_addc_co_u32_e32 v8, vcc, v1, v5, vcc
	s_and_saveexec_b64 s[10:11], s[0:1]
	s_cbranch_execz .LBB2_22
; %bb.21:
	v_mov_b32_e32 v10, s7
	v_mov_b32_e32 v9, s6
	;; [unrolled: 1-line block ×4, first 2 shown]
	global_store_dwordx4 v[7:8], v[9:12], off offset:8
.LBB2_22:
	s_or_b64 exec, exec, s[10:11]
	s_lshl_b64 s[6:7], s[8:9], 12
	v_mov_b32_e32 v5, s7
	v_add_co_u32_e32 v2, vcc, s6, v2
	v_addc_co_u32_e32 v11, vcc, v3, v5, vcc
	v_lshlrev_b32_e32 v31, 6, v32
	s_mov_b32 s8, 0
	v_mov_b32_e32 v3, 33
	v_mov_b32_e32 v5, v4
	;; [unrolled: 1-line block ×3, first 2 shown]
	v_readfirstlane_b32 s6, v2
	v_readfirstlane_b32 s7, v11
	v_add_co_u32_e32 v9, vcc, v2, v31
	s_mov_b32 s9, s8
	s_mov_b32 s10, s8
	;; [unrolled: 1-line block ×3, first 2 shown]
	s_nop 0
	global_store_dwordx4 v31, v[3:6], s[6:7]
	v_mov_b32_e32 v2, s8
	v_addc_co_u32_e32 v10, vcc, 0, v11, vcc
	v_mov_b32_e32 v3, s9
	v_mov_b32_e32 v4, s10
	;; [unrolled: 1-line block ×3, first 2 shown]
	global_store_dwordx4 v31, v[2:5], s[6:7] offset:16
	global_store_dwordx4 v31, v[2:5], s[6:7] offset:32
	;; [unrolled: 1-line block ×3, first 2 shown]
	s_and_saveexec_b64 s[6:7], s[0:1]
	s_cbranch_execz .LBB2_30
; %bb.23:
	v_mov_b32_e32 v6, 0
	global_load_dwordx2 v[13:14], v6, s[2:3] offset:32 glc
	global_load_dwordx2 v[2:3], v6, s[2:3] offset:40
	v_mov_b32_e32 v11, s4
	v_mov_b32_e32 v12, s5
	s_waitcnt vmcnt(0)
	v_and_b32_e32 v2, s4, v2
	v_and_b32_e32 v3, s5, v3
	v_mul_lo_u32 v3, v3, 24
	v_mul_hi_u32 v4, v2, 24
	v_mul_lo_u32 v2, v2, 24
	v_add_u32_e32 v3, v4, v3
	v_add_co_u32_e32 v4, vcc, v0, v2
	v_addc_co_u32_e32 v5, vcc, v1, v3, vcc
	global_store_dwordx2 v[4:5], v[13:14], off
	s_waitcnt vmcnt(0)
	global_atomic_cmpswap_x2 v[2:3], v6, v[11:14], s[2:3] offset:32 glc
	s_waitcnt vmcnt(0)
	v_cmp_ne_u64_e32 vcc, v[2:3], v[13:14]
	s_and_saveexec_b64 s[8:9], vcc
	s_cbranch_execz .LBB2_26
; %bb.24:
	s_mov_b64 s[10:11], 0
.LBB2_25:                               ; =>This Inner Loop Header: Depth=1
	s_sleep 1
	global_store_dwordx2 v[4:5], v[2:3], off
	v_mov_b32_e32 v0, s4
	v_mov_b32_e32 v1, s5
	s_waitcnt vmcnt(0)
	global_atomic_cmpswap_x2 v[0:1], v6, v[0:3], s[2:3] offset:32 glc
	s_waitcnt vmcnt(0)
	v_cmp_eq_u64_e32 vcc, v[0:1], v[2:3]
	v_mov_b32_e32 v3, v1
	s_or_b64 s[10:11], vcc, s[10:11]
	v_mov_b32_e32 v2, v0
	s_andn2_b64 exec, exec, s[10:11]
	s_cbranch_execnz .LBB2_25
.LBB2_26:
	s_or_b64 exec, exec, s[8:9]
	v_mov_b32_e32 v3, 0
	global_load_dwordx2 v[0:1], v3, s[2:3] offset:16
	s_mov_b64 s[8:9], exec
	v_mbcnt_lo_u32_b32 v2, s8, 0
	v_mbcnt_hi_u32_b32 v2, s9, v2
	v_cmp_eq_u32_e32 vcc, 0, v2
	s_and_saveexec_b64 s[10:11], vcc
	s_cbranch_execz .LBB2_28
; %bb.27:
	s_bcnt1_i32_b64 s8, s[8:9]
	v_mov_b32_e32 v2, s8
	s_waitcnt vmcnt(0)
	global_atomic_add_x2 v[0:1], v[2:3], off offset:8
.LBB2_28:
	s_or_b64 exec, exec, s[10:11]
	s_waitcnt vmcnt(0)
	global_load_dwordx2 v[2:3], v[0:1], off offset:16
	s_waitcnt vmcnt(0)
	v_cmp_eq_u64_e32 vcc, 0, v[2:3]
	s_cbranch_vccnz .LBB2_30
; %bb.29:
	global_load_dword v0, v[0:1], off offset:24
	v_mov_b32_e32 v1, 0
	s_waitcnt vmcnt(0)
	v_readfirstlane_b32 s8, v0
	s_and_b32 m0, s8, 0xffffff
	global_store_dwordx2 v[2:3], v[0:1], off
	s_sendmsg sendmsg(MSG_INTERRUPT)
.LBB2_30:
	s_or_b64 exec, exec, s[6:7]
	s_branch .LBB2_34
.LBB2_31:                               ;   in Loop: Header=BB2_34 Depth=1
	s_or_b64 exec, exec, s[6:7]
	v_readfirstlane_b32 s6, v0
	s_cmp_eq_u32 s6, 0
	s_cbranch_scc1 .LBB2_33
; %bb.32:                               ;   in Loop: Header=BB2_34 Depth=1
	s_sleep 1
	s_cbranch_execnz .LBB2_34
	s_branch .LBB2_36
.LBB2_33:
	s_branch .LBB2_36
.LBB2_34:                               ; =>This Inner Loop Header: Depth=1
	v_mov_b32_e32 v0, 1
	s_and_saveexec_b64 s[6:7], s[0:1]
	s_cbranch_execz .LBB2_31
; %bb.35:                               ;   in Loop: Header=BB2_34 Depth=1
	global_load_dword v0, v[7:8], off offset:20 glc
	s_waitcnt vmcnt(0)
	buffer_wbinvl1_vol
	v_and_b32_e32 v0, 1, v0
	s_branch .LBB2_31
.LBB2_36:
	global_load_dwordx2 v[0:1], v[9:10], off
	s_and_saveexec_b64 s[6:7], s[0:1]
	s_cbranch_execz .LBB2_39
; %bb.37:
	v_mov_b32_e32 v8, 0
	global_load_dwordx2 v[2:3], v8, s[2:3] offset:40
	global_load_dwordx2 v[11:12], v8, s[2:3] offset:24 glc
	global_load_dwordx2 v[4:5], v8, s[2:3]
	s_waitcnt vmcnt(2)
	v_readfirstlane_b32 s8, v2
	v_readfirstlane_b32 s9, v3
	s_add_u32 s10, s8, 1
	s_addc_u32 s11, s9, 0
	s_add_u32 s0, s10, s4
	s_addc_u32 s1, s11, s5
	s_cmp_eq_u64 s[0:1], 0
	s_cselect_b32 s1, s11, s1
	s_cselect_b32 s0, s10, s0
	s_and_b64 s[4:5], s[0:1], s[8:9]
	s_mul_i32 s5, s5, 24
	s_mul_hi_u32 s8, s4, 24
	s_mul_i32 s4, s4, 24
	s_add_i32 s5, s8, s5
	v_mov_b32_e32 v2, s5
	s_waitcnt vmcnt(0)
	v_add_co_u32_e32 v6, vcc, s4, v4
	v_addc_co_u32_e32 v7, vcc, v5, v2, vcc
	v_mov_b32_e32 v9, s0
	global_store_dwordx2 v[6:7], v[11:12], off
	v_mov_b32_e32 v10, s1
	s_waitcnt vmcnt(0)
	global_atomic_cmpswap_x2 v[4:5], v8, v[9:12], s[2:3] offset:24 glc
	s_mov_b64 s[4:5], 0
	s_waitcnt vmcnt(0)
	v_cmp_ne_u64_e32 vcc, v[4:5], v[11:12]
	s_and_b64 exec, exec, vcc
	s_cbranch_execz .LBB2_39
.LBB2_38:                               ; =>This Inner Loop Header: Depth=1
	s_sleep 1
	global_store_dwordx2 v[6:7], v[4:5], off
	v_mov_b32_e32 v2, s0
	v_mov_b32_e32 v3, s1
	s_waitcnt vmcnt(0)
	global_atomic_cmpswap_x2 v[2:3], v8, v[2:5], s[2:3] offset:24 glc
	s_waitcnt vmcnt(0)
	v_cmp_eq_u64_e32 vcc, v[2:3], v[4:5]
	v_mov_b32_e32 v5, v3
	s_or_b64 s[4:5], vcc, s[4:5]
	v_mov_b32_e32 v4, v2
	s_andn2_b64 exec, exec, s[4:5]
	s_cbranch_execnz .LBB2_38
.LBB2_39:
	s_or_b64 exec, exec, s[6:7]
	s_getpc_b64 s[4:5]
	s_add_u32 s4, s4, .str@rel32@lo+4
	s_addc_u32 s5, s5, .str@rel32@hi+12
	s_cmp_lg_u64 s[4:5], 0
	s_cselect_b64 s[0:1], -1, 0
	s_cmp_eq_u64 s[4:5], 0
	s_mov_b64 s[4:5], 0
	s_cbranch_scc1 .LBB2_43
; %bb.40:
	v_mov_b32_e32 v2, 0
	s_getpc_b64 s[4:5]
	s_add_u32 s4, s4, .str@rel32@lo+3
	s_addc_u32 s5, s5, .str@rel32@hi+11
.LBB2_41:                               ; =>This Inner Loop Header: Depth=1
	global_load_ubyte v3, v2, s[4:5] offset:1
	s_add_u32 s6, s4, 1
	s_addc_u32 s7, s5, 0
	s_mov_b64 s[4:5], s[6:7]
	s_waitcnt vmcnt(0)
	v_cmp_ne_u32_e32 vcc, 0, v3
	s_cbranch_vccnz .LBB2_41
; %bb.42:
	s_getpc_b64 s[4:5]
	s_add_u32 s4, s4, .str@rel32@lo+4
	s_addc_u32 s5, s5, .str@rel32@hi+12
	s_sub_u32 s4, s6, s4
	s_subb_u32 s5, s7, s5
	s_add_u32 s4, s4, 1
	s_addc_u32 s5, s5, 0
.LBB2_43:
	s_and_b64 vcc, exec, s[0:1]
	s_cbranch_vccz .LBB2_128
; %bb.44:
	s_waitcnt vmcnt(0)
	v_and_b32_e32 v33, 2, v0
	v_mov_b32_e32 v28, 0
	v_and_b32_e32 v4, -3, v0
	v_mov_b32_e32 v5, v1
	v_mov_b32_e32 v10, 2
	;; [unrolled: 1-line block ×3, first 2 shown]
	s_getpc_b64 s[6:7]
	s_add_u32 s6, s6, .str@rel32@lo+4
	s_addc_u32 s7, s7, .str@rel32@hi+12
	s_branch .LBB2_46
.LBB2_45:                               ;   in Loop: Header=BB2_46 Depth=1
	s_or_b64 exec, exec, s[12:13]
	s_sub_u32 s4, s4, s8
	s_subb_u32 s5, s5, s9
	s_add_u32 s6, s6, s8
	s_addc_u32 s7, s7, s9
	s_cmp_lg_u64 s[4:5], 0
	s_cbranch_scc0 .LBB2_129
.LBB2_46:                               ; =>This Loop Header: Depth=1
                                        ;     Child Loop BB2_49 Depth 2
                                        ;     Child Loop BB2_57 Depth 2
	;; [unrolled: 1-line block ×11, first 2 shown]
	v_cmp_lt_u64_e64 s[0:1], s[4:5], 56
	v_cmp_gt_u64_e64 s[10:11], s[4:5], 7
	s_and_b64 s[0:1], s[0:1], exec
	s_cselect_b32 s9, s5, 0
	s_cselect_b32 s8, s4, 56
	s_add_u32 s0, s6, 8
	s_addc_u32 s1, s7, 0
	s_and_b64 vcc, exec, s[10:11]
	s_cbranch_vccnz .LBB2_50
; %bb.47:                               ;   in Loop: Header=BB2_46 Depth=1
	s_cmp_eq_u64 s[4:5], 0
	s_cbranch_scc1 .LBB2_51
; %bb.48:                               ;   in Loop: Header=BB2_46 Depth=1
	v_mov_b32_e32 v6, 0
	s_lshl_b64 s[0:1], s[8:9], 3
	s_mov_b64 s[10:11], 0
	v_mov_b32_e32 v7, 0
	s_mov_b64 s[12:13], s[6:7]
.LBB2_49:                               ;   Parent Loop BB2_46 Depth=1
                                        ; =>  This Inner Loop Header: Depth=2
	global_load_ubyte v2, v28, s[12:13]
	s_waitcnt vmcnt(0)
	v_and_b32_e32 v27, 0xffff, v2
	v_lshlrev_b64 v[2:3], s10, v[27:28]
	s_add_u32 s10, s10, 8
	s_addc_u32 s11, s11, 0
	s_add_u32 s12, s12, 1
	s_addc_u32 s13, s13, 0
	v_or_b32_e32 v6, v2, v6
	s_cmp_lg_u32 s0, s10
	v_or_b32_e32 v7, v3, v7
	s_cbranch_scc1 .LBB2_49
	s_branch .LBB2_52
.LBB2_50:                               ;   in Loop: Header=BB2_46 Depth=1
	s_mov_b32 s14, 0
	s_branch .LBB2_53
.LBB2_51:                               ;   in Loop: Header=BB2_46 Depth=1
	v_mov_b32_e32 v6, 0
	v_mov_b32_e32 v7, 0
.LBB2_52:                               ;   in Loop: Header=BB2_46 Depth=1
	s_mov_b64 s[0:1], s[6:7]
	s_mov_b32 s14, 0
	s_cbranch_execnz .LBB2_54
.LBB2_53:                               ;   in Loop: Header=BB2_46 Depth=1
	global_load_dwordx2 v[6:7], v28, s[6:7]
	s_add_i32 s14, s8, -8
.LBB2_54:                               ;   in Loop: Header=BB2_46 Depth=1
	s_add_u32 s10, s0, 8
	s_addc_u32 s11, s1, 0
	s_cmp_gt_u32 s14, 7
	s_cbranch_scc1 .LBB2_58
; %bb.55:                               ;   in Loop: Header=BB2_46 Depth=1
	s_cmp_eq_u32 s14, 0
	s_cbranch_scc1 .LBB2_59
; %bb.56:                               ;   in Loop: Header=BB2_46 Depth=1
	v_mov_b32_e32 v12, 0
	s_mov_b64 s[10:11], 0
	v_mov_b32_e32 v13, 0
	s_mov_b64 s[12:13], 0
.LBB2_57:                               ;   Parent Loop BB2_46 Depth=1
                                        ; =>  This Inner Loop Header: Depth=2
	s_add_u32 s16, s0, s12
	s_addc_u32 s17, s1, s13
	global_load_ubyte v2, v28, s[16:17]
	s_add_u32 s12, s12, 1
	s_addc_u32 s13, s13, 0
	s_waitcnt vmcnt(0)
	v_and_b32_e32 v27, 0xffff, v2
	v_lshlrev_b64 v[2:3], s10, v[27:28]
	s_add_u32 s10, s10, 8
	s_addc_u32 s11, s11, 0
	v_or_b32_e32 v12, v2, v12
	s_cmp_lg_u32 s14, s12
	v_or_b32_e32 v13, v3, v13
	s_cbranch_scc1 .LBB2_57
	s_branch .LBB2_60
.LBB2_58:                               ;   in Loop: Header=BB2_46 Depth=1
                                        ; implicit-def: $vgpr12_vgpr13
	s_mov_b32 s15, 0
	s_branch .LBB2_61
.LBB2_59:                               ;   in Loop: Header=BB2_46 Depth=1
	v_mov_b32_e32 v12, 0
	v_mov_b32_e32 v13, 0
.LBB2_60:                               ;   in Loop: Header=BB2_46 Depth=1
	s_mov_b64 s[10:11], s[0:1]
	s_mov_b32 s15, 0
	s_cbranch_execnz .LBB2_62
.LBB2_61:                               ;   in Loop: Header=BB2_46 Depth=1
	global_load_dwordx2 v[12:13], v28, s[0:1]
	s_add_i32 s15, s14, -8
.LBB2_62:                               ;   in Loop: Header=BB2_46 Depth=1
	s_add_u32 s0, s10, 8
	s_addc_u32 s1, s11, 0
	s_cmp_gt_u32 s15, 7
	s_cbranch_scc1 .LBB2_66
; %bb.63:                               ;   in Loop: Header=BB2_46 Depth=1
	s_cmp_eq_u32 s15, 0
	s_cbranch_scc1 .LBB2_67
; %bb.64:                               ;   in Loop: Header=BB2_46 Depth=1
	v_mov_b32_e32 v14, 0
	s_mov_b64 s[0:1], 0
	v_mov_b32_e32 v15, 0
	s_mov_b64 s[12:13], 0
.LBB2_65:                               ;   Parent Loop BB2_46 Depth=1
                                        ; =>  This Inner Loop Header: Depth=2
	s_add_u32 s16, s10, s12
	s_addc_u32 s17, s11, s13
	global_load_ubyte v2, v28, s[16:17]
	s_add_u32 s12, s12, 1
	s_addc_u32 s13, s13, 0
	s_waitcnt vmcnt(0)
	v_and_b32_e32 v27, 0xffff, v2
	v_lshlrev_b64 v[2:3], s0, v[27:28]
	s_add_u32 s0, s0, 8
	s_addc_u32 s1, s1, 0
	v_or_b32_e32 v14, v2, v14
	s_cmp_lg_u32 s15, s12
	v_or_b32_e32 v15, v3, v15
	s_cbranch_scc1 .LBB2_65
	s_branch .LBB2_68
.LBB2_66:                               ;   in Loop: Header=BB2_46 Depth=1
	s_mov_b32 s14, 0
	s_branch .LBB2_69
.LBB2_67:                               ;   in Loop: Header=BB2_46 Depth=1
	v_mov_b32_e32 v14, 0
	v_mov_b32_e32 v15, 0
.LBB2_68:                               ;   in Loop: Header=BB2_46 Depth=1
	s_mov_b64 s[0:1], s[10:11]
	s_mov_b32 s14, 0
	s_cbranch_execnz .LBB2_70
.LBB2_69:                               ;   in Loop: Header=BB2_46 Depth=1
	global_load_dwordx2 v[14:15], v28, s[10:11]
	s_add_i32 s14, s15, -8
.LBB2_70:                               ;   in Loop: Header=BB2_46 Depth=1
	s_add_u32 s10, s0, 8
	s_addc_u32 s11, s1, 0
	s_cmp_gt_u32 s14, 7
	s_cbranch_scc1 .LBB2_74
; %bb.71:                               ;   in Loop: Header=BB2_46 Depth=1
	s_cmp_eq_u32 s14, 0
	s_cbranch_scc1 .LBB2_75
; %bb.72:                               ;   in Loop: Header=BB2_46 Depth=1
	v_mov_b32_e32 v16, 0
	s_mov_b64 s[10:11], 0
	v_mov_b32_e32 v17, 0
	s_mov_b64 s[12:13], 0
.LBB2_73:                               ;   Parent Loop BB2_46 Depth=1
                                        ; =>  This Inner Loop Header: Depth=2
	s_add_u32 s16, s0, s12
	s_addc_u32 s17, s1, s13
	global_load_ubyte v2, v28, s[16:17]
	s_add_u32 s12, s12, 1
	s_addc_u32 s13, s13, 0
	s_waitcnt vmcnt(0)
	v_and_b32_e32 v27, 0xffff, v2
	v_lshlrev_b64 v[2:3], s10, v[27:28]
	s_add_u32 s10, s10, 8
	s_addc_u32 s11, s11, 0
	v_or_b32_e32 v16, v2, v16
	s_cmp_lg_u32 s14, s12
	v_or_b32_e32 v17, v3, v17
	s_cbranch_scc1 .LBB2_73
	s_branch .LBB2_76
.LBB2_74:                               ;   in Loop: Header=BB2_46 Depth=1
                                        ; implicit-def: $vgpr16_vgpr17
	s_mov_b32 s15, 0
	s_branch .LBB2_77
.LBB2_75:                               ;   in Loop: Header=BB2_46 Depth=1
	v_mov_b32_e32 v16, 0
	v_mov_b32_e32 v17, 0
.LBB2_76:                               ;   in Loop: Header=BB2_46 Depth=1
	s_mov_b64 s[10:11], s[0:1]
	s_mov_b32 s15, 0
	s_cbranch_execnz .LBB2_78
.LBB2_77:                               ;   in Loop: Header=BB2_46 Depth=1
	global_load_dwordx2 v[16:17], v28, s[0:1]
	s_add_i32 s15, s14, -8
.LBB2_78:                               ;   in Loop: Header=BB2_46 Depth=1
	s_add_u32 s0, s10, 8
	s_addc_u32 s1, s11, 0
	s_cmp_gt_u32 s15, 7
	s_cbranch_scc1 .LBB2_82
; %bb.79:                               ;   in Loop: Header=BB2_46 Depth=1
	s_cmp_eq_u32 s15, 0
	s_cbranch_scc1 .LBB2_83
; %bb.80:                               ;   in Loop: Header=BB2_46 Depth=1
	v_mov_b32_e32 v18, 0
	s_mov_b64 s[0:1], 0
	v_mov_b32_e32 v19, 0
	s_mov_b64 s[12:13], 0
.LBB2_81:                               ;   Parent Loop BB2_46 Depth=1
                                        ; =>  This Inner Loop Header: Depth=2
	s_add_u32 s16, s10, s12
	s_addc_u32 s17, s11, s13
	global_load_ubyte v2, v28, s[16:17]
	s_add_u32 s12, s12, 1
	s_addc_u32 s13, s13, 0
	s_waitcnt vmcnt(0)
	v_and_b32_e32 v27, 0xffff, v2
	v_lshlrev_b64 v[2:3], s0, v[27:28]
	s_add_u32 s0, s0, 8
	s_addc_u32 s1, s1, 0
	v_or_b32_e32 v18, v2, v18
	s_cmp_lg_u32 s15, s12
	v_or_b32_e32 v19, v3, v19
	s_cbranch_scc1 .LBB2_81
	s_branch .LBB2_84
.LBB2_82:                               ;   in Loop: Header=BB2_46 Depth=1
	s_mov_b32 s14, 0
	s_branch .LBB2_85
.LBB2_83:                               ;   in Loop: Header=BB2_46 Depth=1
	v_mov_b32_e32 v18, 0
	v_mov_b32_e32 v19, 0
.LBB2_84:                               ;   in Loop: Header=BB2_46 Depth=1
	s_mov_b64 s[0:1], s[10:11]
	s_mov_b32 s14, 0
	s_cbranch_execnz .LBB2_86
.LBB2_85:                               ;   in Loop: Header=BB2_46 Depth=1
	global_load_dwordx2 v[18:19], v28, s[10:11]
	s_add_i32 s14, s15, -8
.LBB2_86:                               ;   in Loop: Header=BB2_46 Depth=1
	s_add_u32 s10, s0, 8
	s_addc_u32 s11, s1, 0
	s_cmp_gt_u32 s14, 7
	s_cbranch_scc1 .LBB2_90
; %bb.87:                               ;   in Loop: Header=BB2_46 Depth=1
	s_cmp_eq_u32 s14, 0
	s_cbranch_scc1 .LBB2_91
; %bb.88:                               ;   in Loop: Header=BB2_46 Depth=1
	v_mov_b32_e32 v20, 0
	s_mov_b64 s[10:11], 0
	v_mov_b32_e32 v21, 0
	s_mov_b64 s[12:13], 0
.LBB2_89:                               ;   Parent Loop BB2_46 Depth=1
                                        ; =>  This Inner Loop Header: Depth=2
	s_add_u32 s16, s0, s12
	s_addc_u32 s17, s1, s13
	global_load_ubyte v2, v28, s[16:17]
	s_add_u32 s12, s12, 1
	s_addc_u32 s13, s13, 0
	s_waitcnt vmcnt(0)
	v_and_b32_e32 v27, 0xffff, v2
	v_lshlrev_b64 v[2:3], s10, v[27:28]
	s_add_u32 s10, s10, 8
	s_addc_u32 s11, s11, 0
	v_or_b32_e32 v20, v2, v20
	s_cmp_lg_u32 s14, s12
	v_or_b32_e32 v21, v3, v21
	s_cbranch_scc1 .LBB2_89
	s_branch .LBB2_92
.LBB2_90:                               ;   in Loop: Header=BB2_46 Depth=1
                                        ; implicit-def: $vgpr20_vgpr21
	s_mov_b32 s15, 0
	s_branch .LBB2_93
.LBB2_91:                               ;   in Loop: Header=BB2_46 Depth=1
	v_mov_b32_e32 v20, 0
	v_mov_b32_e32 v21, 0
.LBB2_92:                               ;   in Loop: Header=BB2_46 Depth=1
	s_mov_b64 s[10:11], s[0:1]
	s_mov_b32 s15, 0
	s_cbranch_execnz .LBB2_94
.LBB2_93:                               ;   in Loop: Header=BB2_46 Depth=1
	global_load_dwordx2 v[20:21], v28, s[0:1]
	s_add_i32 s15, s14, -8
.LBB2_94:                               ;   in Loop: Header=BB2_46 Depth=1
	s_cmp_gt_u32 s15, 7
	s_cbranch_scc1 .LBB2_98
; %bb.95:                               ;   in Loop: Header=BB2_46 Depth=1
	s_cmp_eq_u32 s15, 0
	s_cbranch_scc1 .LBB2_99
; %bb.96:                               ;   in Loop: Header=BB2_46 Depth=1
	v_mov_b32_e32 v22, 0
	s_mov_b64 s[0:1], 0
	v_mov_b32_e32 v23, 0
	s_mov_b64 s[12:13], s[10:11]
.LBB2_97:                               ;   Parent Loop BB2_46 Depth=1
                                        ; =>  This Inner Loop Header: Depth=2
	global_load_ubyte v2, v28, s[12:13]
	s_add_i32 s15, s15, -1
	s_waitcnt vmcnt(0)
	v_and_b32_e32 v27, 0xffff, v2
	v_lshlrev_b64 v[2:3], s0, v[27:28]
	s_add_u32 s0, s0, 8
	s_addc_u32 s1, s1, 0
	s_add_u32 s12, s12, 1
	s_addc_u32 s13, s13, 0
	v_or_b32_e32 v22, v2, v22
	s_cmp_lg_u32 s15, 0
	v_or_b32_e32 v23, v3, v23
	s_cbranch_scc1 .LBB2_97
	s_branch .LBB2_100
.LBB2_98:                               ;   in Loop: Header=BB2_46 Depth=1
	s_branch .LBB2_101
.LBB2_99:                               ;   in Loop: Header=BB2_46 Depth=1
	v_mov_b32_e32 v22, 0
	v_mov_b32_e32 v23, 0
.LBB2_100:                              ;   in Loop: Header=BB2_46 Depth=1
	s_cbranch_execnz .LBB2_102
.LBB2_101:                              ;   in Loop: Header=BB2_46 Depth=1
	global_load_dwordx2 v[22:23], v28, s[10:11]
.LBB2_102:                              ;   in Loop: Header=BB2_46 Depth=1
	v_readfirstlane_b32 s0, v32
	v_mov_b32_e32 v2, 0
	v_mov_b32_e32 v3, 0
	v_cmp_eq_u32_e64 s[0:1], s0, v32
	s_and_saveexec_b64 s[10:11], s[0:1]
	s_cbranch_execz .LBB2_108
; %bb.103:                              ;   in Loop: Header=BB2_46 Depth=1
	global_load_dwordx2 v[26:27], v28, s[2:3] offset:24 glc
	s_waitcnt vmcnt(0)
	buffer_wbinvl1_vol
	global_load_dwordx2 v[2:3], v28, s[2:3] offset:40
	global_load_dwordx2 v[8:9], v28, s[2:3]
	s_waitcnt vmcnt(1)
	v_and_b32_e32 v2, v2, v26
	v_and_b32_e32 v3, v3, v27
	v_mul_lo_u32 v3, v3, 24
	v_mul_hi_u32 v24, v2, 24
	v_mul_lo_u32 v2, v2, 24
	v_add_u32_e32 v3, v24, v3
	s_waitcnt vmcnt(0)
	v_add_co_u32_e32 v2, vcc, v8, v2
	v_addc_co_u32_e32 v3, vcc, v9, v3, vcc
	global_load_dwordx2 v[24:25], v[2:3], off glc
	s_waitcnt vmcnt(0)
	global_atomic_cmpswap_x2 v[2:3], v28, v[24:27], s[2:3] offset:24 glc
	s_waitcnt vmcnt(0)
	buffer_wbinvl1_vol
	v_cmp_ne_u64_e32 vcc, v[2:3], v[26:27]
	s_and_saveexec_b64 s[12:13], vcc
	s_cbranch_execz .LBB2_107
; %bb.104:                              ;   in Loop: Header=BB2_46 Depth=1
	s_mov_b64 s[14:15], 0
.LBB2_105:                              ;   Parent Loop BB2_46 Depth=1
                                        ; =>  This Inner Loop Header: Depth=2
	s_sleep 1
	global_load_dwordx2 v[8:9], v28, s[2:3] offset:40
	global_load_dwordx2 v[24:25], v28, s[2:3]
	v_mov_b32_e32 v27, v3
	v_mov_b32_e32 v26, v2
	s_waitcnt vmcnt(1)
	v_and_b32_e32 v2, v8, v26
	s_waitcnt vmcnt(0)
	v_mad_u64_u32 v[2:3], s[16:17], v2, 24, v[24:25]
	v_and_b32_e32 v8, v9, v27
	v_mad_u64_u32 v[8:9], s[16:17], v8, 24, v[3:4]
	v_mov_b32_e32 v3, v8
	global_load_dwordx2 v[24:25], v[2:3], off glc
	s_waitcnt vmcnt(0)
	global_atomic_cmpswap_x2 v[2:3], v28, v[24:27], s[2:3] offset:24 glc
	s_waitcnt vmcnt(0)
	buffer_wbinvl1_vol
	v_cmp_eq_u64_e32 vcc, v[2:3], v[26:27]
	s_or_b64 s[14:15], vcc, s[14:15]
	s_andn2_b64 exec, exec, s[14:15]
	s_cbranch_execnz .LBB2_105
; %bb.106:                              ;   in Loop: Header=BB2_46 Depth=1
	s_or_b64 exec, exec, s[14:15]
.LBB2_107:                              ;   in Loop: Header=BB2_46 Depth=1
	s_or_b64 exec, exec, s[12:13]
.LBB2_108:                              ;   in Loop: Header=BB2_46 Depth=1
	s_or_b64 exec, exec, s[10:11]
	global_load_dwordx2 v[8:9], v28, s[2:3] offset:40
	global_load_dwordx4 v[24:27], v28, s[2:3]
	v_readfirstlane_b32 s11, v3
	v_readfirstlane_b32 s10, v2
	s_mov_b64 s[12:13], exec
	s_waitcnt vmcnt(1)
	v_readfirstlane_b32 s14, v8
	v_readfirstlane_b32 s15, v9
	s_and_b64 s[14:15], s[14:15], s[10:11]
	s_mul_i32 s16, s15, 24
	s_mul_hi_u32 s17, s14, 24
	s_mul_i32 s18, s14, 24
	s_add_i32 s16, s17, s16
	v_mov_b32_e32 v2, s16
	s_waitcnt vmcnt(0)
	v_add_co_u32_e32 v29, vcc, s18, v24
	v_addc_co_u32_e32 v30, vcc, v25, v2, vcc
	s_and_saveexec_b64 s[16:17], s[0:1]
	s_cbranch_execz .LBB2_110
; %bb.109:                              ;   in Loop: Header=BB2_46 Depth=1
	v_mov_b32_e32 v8, s12
	v_mov_b32_e32 v9, s13
	global_store_dwordx4 v[29:30], v[8:11], off offset:8
.LBB2_110:                              ;   in Loop: Header=BB2_46 Depth=1
	s_or_b64 exec, exec, s[16:17]
	s_lshl_b64 s[12:13], s[14:15], 12
	v_mov_b32_e32 v2, s13
	v_add_co_u32_e32 v8, vcc, s12, v26
	v_addc_co_u32_e32 v9, vcc, v27, v2, vcc
	v_cmp_lt_u64_e64 vcc, s[4:5], 57
	s_lshl_b32 s12, s8, 2
	v_cndmask_b32_e32 v2, 0, v33, vcc
	s_add_i32 s12, s12, 28
	v_and_b32_e32 v3, 0xffffff1f, v4
	s_and_b32 s12, s12, 0x1e0
	v_or_b32_e32 v2, v3, v2
	v_or_b32_e32 v4, s12, v2
	v_readfirstlane_b32 s12, v8
	v_readfirstlane_b32 s13, v9
	s_nop 4
	global_store_dwordx4 v31, v[4:7], s[12:13]
	global_store_dwordx4 v31, v[12:15], s[12:13] offset:16
	global_store_dwordx4 v31, v[16:19], s[12:13] offset:32
	;; [unrolled: 1-line block ×3, first 2 shown]
	s_and_saveexec_b64 s[12:13], s[0:1]
	s_cbranch_execz .LBB2_118
; %bb.111:                              ;   in Loop: Header=BB2_46 Depth=1
	global_load_dwordx2 v[14:15], v28, s[2:3] offset:32 glc
	global_load_dwordx2 v[2:3], v28, s[2:3] offset:40
	v_mov_b32_e32 v12, s10
	v_mov_b32_e32 v13, s11
	s_waitcnt vmcnt(0)
	v_readfirstlane_b32 s14, v2
	v_readfirstlane_b32 s15, v3
	s_and_b64 s[14:15], s[14:15], s[10:11]
	s_mul_i32 s15, s15, 24
	s_mul_hi_u32 s16, s14, 24
	s_mul_i32 s14, s14, 24
	s_add_i32 s15, s16, s15
	v_mov_b32_e32 v2, s15
	v_add_co_u32_e32 v6, vcc, s14, v24
	v_addc_co_u32_e32 v7, vcc, v25, v2, vcc
	global_store_dwordx2 v[6:7], v[14:15], off
	s_waitcnt vmcnt(0)
	global_atomic_cmpswap_x2 v[4:5], v28, v[12:15], s[2:3] offset:32 glc
	s_waitcnt vmcnt(0)
	v_cmp_ne_u64_e32 vcc, v[4:5], v[14:15]
	s_and_saveexec_b64 s[14:15], vcc
	s_cbranch_execz .LBB2_114
; %bb.112:                              ;   in Loop: Header=BB2_46 Depth=1
	s_mov_b64 s[16:17], 0
.LBB2_113:                              ;   Parent Loop BB2_46 Depth=1
                                        ; =>  This Inner Loop Header: Depth=2
	s_sleep 1
	global_store_dwordx2 v[6:7], v[4:5], off
	v_mov_b32_e32 v2, s10
	v_mov_b32_e32 v3, s11
	s_waitcnt vmcnt(0)
	global_atomic_cmpswap_x2 v[2:3], v28, v[2:5], s[2:3] offset:32 glc
	s_waitcnt vmcnt(0)
	v_cmp_eq_u64_e32 vcc, v[2:3], v[4:5]
	v_mov_b32_e32 v5, v3
	s_or_b64 s[16:17], vcc, s[16:17]
	v_mov_b32_e32 v4, v2
	s_andn2_b64 exec, exec, s[16:17]
	s_cbranch_execnz .LBB2_113
.LBB2_114:                              ;   in Loop: Header=BB2_46 Depth=1
	s_or_b64 exec, exec, s[14:15]
	global_load_dwordx2 v[2:3], v28, s[2:3] offset:16
	s_mov_b64 s[16:17], exec
	v_mbcnt_lo_u32_b32 v4, s16, 0
	v_mbcnt_hi_u32_b32 v4, s17, v4
	v_cmp_eq_u32_e32 vcc, 0, v4
	s_and_saveexec_b64 s[14:15], vcc
	s_cbranch_execz .LBB2_116
; %bb.115:                              ;   in Loop: Header=BB2_46 Depth=1
	s_bcnt1_i32_b64 s16, s[16:17]
	v_mov_b32_e32 v27, s16
	s_waitcnt vmcnt(0)
	global_atomic_add_x2 v[2:3], v[27:28], off offset:8
.LBB2_116:                              ;   in Loop: Header=BB2_46 Depth=1
	s_or_b64 exec, exec, s[14:15]
	s_waitcnt vmcnt(0)
	global_load_dwordx2 v[4:5], v[2:3], off offset:16
	s_waitcnt vmcnt(0)
	v_cmp_eq_u64_e32 vcc, 0, v[4:5]
	s_cbranch_vccnz .LBB2_118
; %bb.117:                              ;   in Loop: Header=BB2_46 Depth=1
	global_load_dword v27, v[2:3], off offset:24
	s_waitcnt vmcnt(0)
	v_readfirstlane_b32 s14, v27
	s_and_b32 m0, s14, 0xffffff
	global_store_dwordx2 v[4:5], v[27:28], off
	s_sendmsg sendmsg(MSG_INTERRUPT)
.LBB2_118:                              ;   in Loop: Header=BB2_46 Depth=1
	s_or_b64 exec, exec, s[12:13]
	v_add_co_u32_e32 v2, vcc, v8, v31
	v_addc_co_u32_e32 v3, vcc, 0, v9, vcc
	s_branch .LBB2_122
.LBB2_119:                              ;   in Loop: Header=BB2_122 Depth=2
	s_or_b64 exec, exec, s[12:13]
	v_readfirstlane_b32 s12, v4
	s_cmp_eq_u32 s12, 0
	s_cbranch_scc1 .LBB2_121
; %bb.120:                              ;   in Loop: Header=BB2_122 Depth=2
	s_sleep 1
	s_cbranch_execnz .LBB2_122
	s_branch .LBB2_124
.LBB2_121:                              ;   in Loop: Header=BB2_46 Depth=1
	s_branch .LBB2_124
.LBB2_122:                              ;   Parent Loop BB2_46 Depth=1
                                        ; =>  This Inner Loop Header: Depth=2
	v_mov_b32_e32 v4, 1
	s_and_saveexec_b64 s[12:13], s[0:1]
	s_cbranch_execz .LBB2_119
; %bb.123:                              ;   in Loop: Header=BB2_122 Depth=2
	global_load_dword v4, v[29:30], off offset:20 glc
	s_waitcnt vmcnt(0)
	buffer_wbinvl1_vol
	v_and_b32_e32 v4, 1, v4
	s_branch .LBB2_119
.LBB2_124:                              ;   in Loop: Header=BB2_46 Depth=1
	global_load_dwordx2 v[4:5], v[2:3], off
	s_and_saveexec_b64 s[12:13], s[0:1]
	s_cbranch_execz .LBB2_45
; %bb.125:                              ;   in Loop: Header=BB2_46 Depth=1
	global_load_dwordx2 v[2:3], v28, s[2:3] offset:40
	global_load_dwordx2 v[14:15], v28, s[2:3] offset:24 glc
	global_load_dwordx2 v[6:7], v28, s[2:3]
	s_waitcnt vmcnt(2)
	v_readfirstlane_b32 s14, v2
	v_readfirstlane_b32 s15, v3
	s_add_u32 s16, s14, 1
	s_addc_u32 s17, s15, 0
	s_add_u32 s0, s16, s10
	s_addc_u32 s1, s17, s11
	s_cmp_eq_u64 s[0:1], 0
	s_cselect_b32 s1, s17, s1
	s_cselect_b32 s0, s16, s0
	s_and_b64 s[10:11], s[0:1], s[14:15]
	s_mul_i32 s11, s11, 24
	s_mul_hi_u32 s14, s10, 24
	s_mul_i32 s10, s10, 24
	s_add_i32 s11, s14, s11
	v_mov_b32_e32 v3, s11
	s_waitcnt vmcnt(0)
	v_add_co_u32_e32 v2, vcc, s10, v6
	v_addc_co_u32_e32 v3, vcc, v7, v3, vcc
	v_mov_b32_e32 v12, s0
	global_store_dwordx2 v[2:3], v[14:15], off
	v_mov_b32_e32 v13, s1
	s_waitcnt vmcnt(0)
	global_atomic_cmpswap_x2 v[8:9], v28, v[12:15], s[2:3] offset:24 glc
	s_waitcnt vmcnt(0)
	v_cmp_ne_u64_e32 vcc, v[8:9], v[14:15]
	s_and_b64 exec, exec, vcc
	s_cbranch_execz .LBB2_45
; %bb.126:                              ;   in Loop: Header=BB2_46 Depth=1
	s_mov_b64 s[10:11], 0
.LBB2_127:                              ;   Parent Loop BB2_46 Depth=1
                                        ; =>  This Inner Loop Header: Depth=2
	s_sleep 1
	global_store_dwordx2 v[2:3], v[8:9], off
	v_mov_b32_e32 v6, s0
	v_mov_b32_e32 v7, s1
	s_waitcnt vmcnt(0)
	global_atomic_cmpswap_x2 v[6:7], v28, v[6:9], s[2:3] offset:24 glc
	s_waitcnt vmcnt(0)
	v_cmp_eq_u64_e32 vcc, v[6:7], v[8:9]
	v_mov_b32_e32 v9, v7
	s_or_b64 s[10:11], vcc, s[10:11]
	v_mov_b32_e32 v8, v6
	s_andn2_b64 exec, exec, s[10:11]
	s_cbranch_execnz .LBB2_127
	s_branch .LBB2_45
.LBB2_128:
	s_mov_b64 s[0:1], -1
                                        ; implicit-def: $vgpr4_vgpr5
	s_branch .LBB2_130
.LBB2_129:
	s_mov_b64 s[0:1], 0
.LBB2_130:
	s_and_b64 vcc, exec, s[0:1]
	s_cbranch_vccz .LBB2_157
; %bb.131:
	v_readfirstlane_b32 s0, v32
	v_mov_b32_e32 v8, 0
	v_mov_b32_e32 v9, 0
	v_cmp_eq_u32_e64 s[0:1], s0, v32
	s_and_saveexec_b64 s[4:5], s[0:1]
	s_cbranch_execz .LBB2_137
; %bb.132:
	v_mov_b32_e32 v2, 0
	global_load_dwordx2 v[5:6], v2, s[2:3] offset:24 glc
	s_waitcnt vmcnt(0)
	buffer_wbinvl1_vol
	global_load_dwordx2 v[3:4], v2, s[2:3] offset:40
	global_load_dwordx2 v[7:8], v2, s[2:3]
	s_waitcnt vmcnt(1)
	v_and_b32_e32 v3, v3, v5
	v_and_b32_e32 v4, v4, v6
	v_mul_lo_u32 v4, v4, 24
	v_mul_hi_u32 v9, v3, 24
	v_mul_lo_u32 v3, v3, 24
	v_add_u32_e32 v4, v9, v4
	s_waitcnt vmcnt(0)
	v_add_co_u32_e32 v3, vcc, v7, v3
	v_addc_co_u32_e32 v4, vcc, v8, v4, vcc
	global_load_dwordx2 v[3:4], v[3:4], off glc
	s_waitcnt vmcnt(0)
	global_atomic_cmpswap_x2 v[8:9], v2, v[3:6], s[2:3] offset:24 glc
	s_waitcnt vmcnt(0)
	buffer_wbinvl1_vol
	v_cmp_ne_u64_e32 vcc, v[8:9], v[5:6]
	s_and_saveexec_b64 s[6:7], vcc
	s_cbranch_execz .LBB2_136
; %bb.133:
	s_mov_b64 s[8:9], 0
.LBB2_134:                              ; =>This Inner Loop Header: Depth=1
	s_sleep 1
	global_load_dwordx2 v[3:4], v2, s[2:3] offset:40
	global_load_dwordx2 v[10:11], v2, s[2:3]
	v_mov_b32_e32 v5, v8
	v_mov_b32_e32 v6, v9
	s_waitcnt vmcnt(1)
	v_and_b32_e32 v3, v3, v5
	s_waitcnt vmcnt(0)
	v_mad_u64_u32 v[7:8], s[10:11], v3, 24, v[10:11]
	v_and_b32_e32 v4, v4, v6
	v_mov_b32_e32 v3, v8
	v_mad_u64_u32 v[3:4], s[10:11], v4, 24, v[3:4]
	v_mov_b32_e32 v8, v3
	global_load_dwordx2 v[3:4], v[7:8], off glc
	s_waitcnt vmcnt(0)
	global_atomic_cmpswap_x2 v[8:9], v2, v[3:6], s[2:3] offset:24 glc
	s_waitcnt vmcnt(0)
	buffer_wbinvl1_vol
	v_cmp_eq_u64_e32 vcc, v[8:9], v[5:6]
	s_or_b64 s[8:9], vcc, s[8:9]
	s_andn2_b64 exec, exec, s[8:9]
	s_cbranch_execnz .LBB2_134
; %bb.135:
	s_or_b64 exec, exec, s[8:9]
.LBB2_136:
	s_or_b64 exec, exec, s[6:7]
.LBB2_137:
	s_or_b64 exec, exec, s[4:5]
	v_mov_b32_e32 v2, 0
	global_load_dwordx2 v[10:11], v2, s[2:3] offset:40
	global_load_dwordx4 v[4:7], v2, s[2:3]
	v_readfirstlane_b32 s5, v9
	v_readfirstlane_b32 s4, v8
	s_mov_b64 s[6:7], exec
	s_waitcnt vmcnt(1)
	v_readfirstlane_b32 s8, v10
	v_readfirstlane_b32 s9, v11
	s_and_b64 s[8:9], s[8:9], s[4:5]
	s_mul_i32 s10, s9, 24
	s_mul_hi_u32 s11, s8, 24
	s_mul_i32 s12, s8, 24
	s_add_i32 s10, s11, s10
	v_mov_b32_e32 v3, s10
	s_waitcnt vmcnt(0)
	v_add_co_u32_e32 v8, vcc, s12, v4
	v_addc_co_u32_e32 v9, vcc, v5, v3, vcc
	s_and_saveexec_b64 s[10:11], s[0:1]
	s_cbranch_execz .LBB2_139
; %bb.138:
	v_mov_b32_e32 v11, s7
	v_mov_b32_e32 v10, s6
	;; [unrolled: 1-line block ×4, first 2 shown]
	global_store_dwordx4 v[8:9], v[10:13], off offset:8
.LBB2_139:
	s_or_b64 exec, exec, s[10:11]
	s_lshl_b64 s[6:7], s[8:9], 12
	v_mov_b32_e32 v3, s7
	v_add_co_u32_e32 v10, vcc, s6, v6
	v_addc_co_u32_e32 v11, vcc, v7, v3, vcc
	s_movk_i32 s6, 0xff1f
	v_and_or_b32 v0, v0, s6, 32
	s_mov_b32 s8, 0
	v_mov_b32_e32 v3, v2
	v_readfirstlane_b32 s6, v10
	v_readfirstlane_b32 s7, v11
	v_add_co_u32_e32 v6, vcc, v10, v31
	s_mov_b32 s9, s8
	s_mov_b32 s10, s8
	;; [unrolled: 1-line block ×3, first 2 shown]
	s_nop 0
	global_store_dwordx4 v31, v[0:3], s[6:7]
	v_addc_co_u32_e32 v7, vcc, 0, v11, vcc
	v_mov_b32_e32 v0, s8
	v_mov_b32_e32 v1, s9
	v_mov_b32_e32 v2, s10
	v_mov_b32_e32 v3, s11
	global_store_dwordx4 v31, v[0:3], s[6:7] offset:16
	global_store_dwordx4 v31, v[0:3], s[6:7] offset:32
	;; [unrolled: 1-line block ×3, first 2 shown]
	s_and_saveexec_b64 s[6:7], s[0:1]
	s_cbranch_execz .LBB2_147
; %bb.140:
	v_mov_b32_e32 v10, 0
	global_load_dwordx2 v[13:14], v10, s[2:3] offset:32 glc
	global_load_dwordx2 v[0:1], v10, s[2:3] offset:40
	v_mov_b32_e32 v11, s4
	v_mov_b32_e32 v12, s5
	s_waitcnt vmcnt(0)
	v_readfirstlane_b32 s8, v0
	v_readfirstlane_b32 s9, v1
	s_and_b64 s[8:9], s[8:9], s[4:5]
	s_mul_i32 s9, s9, 24
	s_mul_hi_u32 s10, s8, 24
	s_mul_i32 s8, s8, 24
	s_add_i32 s9, s10, s9
	v_mov_b32_e32 v0, s9
	v_add_co_u32_e32 v4, vcc, s8, v4
	v_addc_co_u32_e32 v5, vcc, v5, v0, vcc
	global_store_dwordx2 v[4:5], v[13:14], off
	s_waitcnt vmcnt(0)
	global_atomic_cmpswap_x2 v[2:3], v10, v[11:14], s[2:3] offset:32 glc
	s_waitcnt vmcnt(0)
	v_cmp_ne_u64_e32 vcc, v[2:3], v[13:14]
	s_and_saveexec_b64 s[8:9], vcc
	s_cbranch_execz .LBB2_143
; %bb.141:
	s_mov_b64 s[10:11], 0
.LBB2_142:                              ; =>This Inner Loop Header: Depth=1
	s_sleep 1
	global_store_dwordx2 v[4:5], v[2:3], off
	v_mov_b32_e32 v0, s4
	v_mov_b32_e32 v1, s5
	s_waitcnt vmcnt(0)
	global_atomic_cmpswap_x2 v[0:1], v10, v[0:3], s[2:3] offset:32 glc
	s_waitcnt vmcnt(0)
	v_cmp_eq_u64_e32 vcc, v[0:1], v[2:3]
	v_mov_b32_e32 v3, v1
	s_or_b64 s[10:11], vcc, s[10:11]
	v_mov_b32_e32 v2, v0
	s_andn2_b64 exec, exec, s[10:11]
	s_cbranch_execnz .LBB2_142
.LBB2_143:
	s_or_b64 exec, exec, s[8:9]
	v_mov_b32_e32 v3, 0
	global_load_dwordx2 v[0:1], v3, s[2:3] offset:16
	s_mov_b64 s[8:9], exec
	v_mbcnt_lo_u32_b32 v2, s8, 0
	v_mbcnt_hi_u32_b32 v2, s9, v2
	v_cmp_eq_u32_e32 vcc, 0, v2
	s_and_saveexec_b64 s[10:11], vcc
	s_cbranch_execz .LBB2_145
; %bb.144:
	s_bcnt1_i32_b64 s8, s[8:9]
	v_mov_b32_e32 v2, s8
	s_waitcnt vmcnt(0)
	global_atomic_add_x2 v[0:1], v[2:3], off offset:8
.LBB2_145:
	s_or_b64 exec, exec, s[10:11]
	s_waitcnt vmcnt(0)
	global_load_dwordx2 v[2:3], v[0:1], off offset:16
	s_waitcnt vmcnt(0)
	v_cmp_eq_u64_e32 vcc, 0, v[2:3]
	s_cbranch_vccnz .LBB2_147
; %bb.146:
	global_load_dword v0, v[0:1], off offset:24
	v_mov_b32_e32 v1, 0
	s_waitcnt vmcnt(0)
	v_readfirstlane_b32 s8, v0
	s_and_b32 m0, s8, 0xffffff
	global_store_dwordx2 v[2:3], v[0:1], off
	s_sendmsg sendmsg(MSG_INTERRUPT)
.LBB2_147:
	s_or_b64 exec, exec, s[6:7]
	s_branch .LBB2_151
.LBB2_148:                              ;   in Loop: Header=BB2_151 Depth=1
	s_or_b64 exec, exec, s[6:7]
	v_readfirstlane_b32 s6, v0
	s_cmp_eq_u32 s6, 0
	s_cbranch_scc1 .LBB2_150
; %bb.149:                              ;   in Loop: Header=BB2_151 Depth=1
	s_sleep 1
	s_cbranch_execnz .LBB2_151
	s_branch .LBB2_153
.LBB2_150:
	s_branch .LBB2_153
.LBB2_151:                              ; =>This Inner Loop Header: Depth=1
	v_mov_b32_e32 v0, 1
	s_and_saveexec_b64 s[6:7], s[0:1]
	s_cbranch_execz .LBB2_148
; %bb.152:                              ;   in Loop: Header=BB2_151 Depth=1
	global_load_dword v0, v[8:9], off offset:20 glc
	s_waitcnt vmcnt(0)
	buffer_wbinvl1_vol
	v_and_b32_e32 v0, 1, v0
	s_branch .LBB2_148
.LBB2_153:
	global_load_dwordx2 v[4:5], v[6:7], off
	s_and_saveexec_b64 s[6:7], s[0:1]
	s_cbranch_execz .LBB2_156
; %bb.154:
	v_mov_b32_e32 v8, 0
	global_load_dwordx2 v[0:1], v8, s[2:3] offset:40
	global_load_dwordx2 v[11:12], v8, s[2:3] offset:24 glc
	global_load_dwordx2 v[2:3], v8, s[2:3]
	s_waitcnt vmcnt(2)
	v_readfirstlane_b32 s8, v0
	v_readfirstlane_b32 s9, v1
	s_add_u32 s10, s8, 1
	s_addc_u32 s11, s9, 0
	s_add_u32 s0, s10, s4
	s_addc_u32 s1, s11, s5
	s_cmp_eq_u64 s[0:1], 0
	s_cselect_b32 s1, s11, s1
	s_cselect_b32 s0, s10, s0
	s_and_b64 s[4:5], s[0:1], s[8:9]
	s_mul_i32 s5, s5, 24
	s_mul_hi_u32 s8, s4, 24
	s_mul_i32 s4, s4, 24
	s_add_i32 s5, s8, s5
	v_mov_b32_e32 v0, s5
	s_waitcnt vmcnt(0)
	v_add_co_u32_e32 v6, vcc, s4, v2
	v_addc_co_u32_e32 v7, vcc, v3, v0, vcc
	v_mov_b32_e32 v9, s0
	global_store_dwordx2 v[6:7], v[11:12], off
	v_mov_b32_e32 v10, s1
	s_waitcnt vmcnt(0)
	global_atomic_cmpswap_x2 v[2:3], v8, v[9:12], s[2:3] offset:24 glc
	s_mov_b64 s[4:5], 0
	s_waitcnt vmcnt(0)
	v_cmp_ne_u64_e32 vcc, v[2:3], v[11:12]
	s_and_b64 exec, exec, vcc
	s_cbranch_execz .LBB2_156
.LBB2_155:                              ; =>This Inner Loop Header: Depth=1
	s_sleep 1
	global_store_dwordx2 v[6:7], v[2:3], off
	v_mov_b32_e32 v0, s0
	v_mov_b32_e32 v1, s1
	s_waitcnt vmcnt(0)
	global_atomic_cmpswap_x2 v[0:1], v8, v[0:3], s[2:3] offset:24 glc
	s_waitcnt vmcnt(0)
	v_cmp_eq_u64_e32 vcc, v[0:1], v[2:3]
	v_mov_b32_e32 v3, v1
	s_or_b64 s[4:5], vcc, s[4:5]
	v_mov_b32_e32 v2, v0
	s_andn2_b64 exec, exec, s[4:5]
	s_cbranch_execnz .LBB2_155
.LBB2_156:
	s_or_b64 exec, exec, s[6:7]
.LBB2_157:
	s_getpc_b64 s[4:5]
	s_add_u32 s4, s4, .str.1@rel32@lo+4
	s_addc_u32 s5, s5, .str.1@rel32@hi+12
	s_cmp_lg_u64 s[4:5], 0
	s_cbranch_scc0 .LBB2_242
; %bb.158:
	s_waitcnt vmcnt(0)
	v_and_b32_e32 v29, 2, v4
	v_mov_b32_e32 v26, 0
	v_and_b32_e32 v0, -3, v4
	v_mov_b32_e32 v1, v5
	s_mov_b64 s[6:7], 0x61
	v_mov_b32_e32 v8, 2
	v_mov_b32_e32 v9, 1
	s_branch .LBB2_160
.LBB2_159:                              ;   in Loop: Header=BB2_160 Depth=1
	s_or_b64 exec, exec, s[12:13]
	s_sub_u32 s6, s6, s8
	s_subb_u32 s7, s7, s9
	s_add_u32 s4, s4, s8
	s_addc_u32 s5, s5, s9
	s_cmp_lg_u64 s[6:7], 0
	s_cbranch_scc0 .LBB2_243
.LBB2_160:                              ; =>This Loop Header: Depth=1
                                        ;     Child Loop BB2_163 Depth 2
                                        ;     Child Loop BB2_171 Depth 2
	;; [unrolled: 1-line block ×11, first 2 shown]
	v_cmp_lt_u64_e64 s[0:1], s[6:7], 56
	v_cmp_gt_u64_e64 s[10:11], s[6:7], 7
	s_and_b64 s[0:1], s[0:1], exec
	s_cselect_b32 s9, s7, 0
	s_cselect_b32 s8, s6, 56
	s_add_u32 s0, s4, 8
	s_addc_u32 s1, s5, 0
	s_and_b64 vcc, exec, s[10:11]
	s_cbranch_vccnz .LBB2_164
; %bb.161:                              ;   in Loop: Header=BB2_160 Depth=1
	s_cmp_eq_u64 s[6:7], 0
	s_cbranch_scc1 .LBB2_165
; %bb.162:                              ;   in Loop: Header=BB2_160 Depth=1
	v_mov_b32_e32 v2, 0
	s_lshl_b64 s[0:1], s[8:9], 3
	s_mov_b64 s[10:11], 0
	v_mov_b32_e32 v3, 0
	s_mov_b64 s[12:13], s[4:5]
.LBB2_163:                              ;   Parent Loop BB2_160 Depth=1
                                        ; =>  This Inner Loop Header: Depth=2
	global_load_ubyte v6, v26, s[12:13]
	s_waitcnt vmcnt(0)
	v_and_b32_e32 v25, 0xffff, v6
	v_lshlrev_b64 v[6:7], s10, v[25:26]
	s_add_u32 s10, s10, 8
	s_addc_u32 s11, s11, 0
	s_add_u32 s12, s12, 1
	s_addc_u32 s13, s13, 0
	v_or_b32_e32 v2, v6, v2
	s_cmp_lg_u32 s0, s10
	v_or_b32_e32 v3, v7, v3
	s_cbranch_scc1 .LBB2_163
	s_branch .LBB2_166
.LBB2_164:                              ;   in Loop: Header=BB2_160 Depth=1
	s_mov_b32 s14, 0
	s_branch .LBB2_167
.LBB2_165:                              ;   in Loop: Header=BB2_160 Depth=1
	v_mov_b32_e32 v2, 0
	v_mov_b32_e32 v3, 0
.LBB2_166:                              ;   in Loop: Header=BB2_160 Depth=1
	s_mov_b64 s[0:1], s[4:5]
	s_mov_b32 s14, 0
	s_cbranch_execnz .LBB2_168
.LBB2_167:                              ;   in Loop: Header=BB2_160 Depth=1
	global_load_dwordx2 v[2:3], v26, s[4:5]
	s_add_i32 s14, s8, -8
.LBB2_168:                              ;   in Loop: Header=BB2_160 Depth=1
	s_add_u32 s10, s0, 8
	s_addc_u32 s11, s1, 0
	s_cmp_gt_u32 s14, 7
	s_cbranch_scc1 .LBB2_172
; %bb.169:                              ;   in Loop: Header=BB2_160 Depth=1
	s_cmp_eq_u32 s14, 0
	s_cbranch_scc1 .LBB2_173
; %bb.170:                              ;   in Loop: Header=BB2_160 Depth=1
	v_mov_b32_e32 v10, 0
	s_mov_b64 s[10:11], 0
	v_mov_b32_e32 v11, 0
	s_mov_b64 s[12:13], 0
.LBB2_171:                              ;   Parent Loop BB2_160 Depth=1
                                        ; =>  This Inner Loop Header: Depth=2
	s_add_u32 s16, s0, s12
	s_addc_u32 s17, s1, s13
	global_load_ubyte v6, v26, s[16:17]
	s_add_u32 s12, s12, 1
	s_addc_u32 s13, s13, 0
	s_waitcnt vmcnt(0)
	v_and_b32_e32 v25, 0xffff, v6
	v_lshlrev_b64 v[6:7], s10, v[25:26]
	s_add_u32 s10, s10, 8
	s_addc_u32 s11, s11, 0
	v_or_b32_e32 v10, v6, v10
	s_cmp_lg_u32 s14, s12
	v_or_b32_e32 v11, v7, v11
	s_cbranch_scc1 .LBB2_171
	s_branch .LBB2_174
.LBB2_172:                              ;   in Loop: Header=BB2_160 Depth=1
                                        ; implicit-def: $vgpr10_vgpr11
	s_mov_b32 s15, 0
	s_branch .LBB2_175
.LBB2_173:                              ;   in Loop: Header=BB2_160 Depth=1
	v_mov_b32_e32 v10, 0
	v_mov_b32_e32 v11, 0
.LBB2_174:                              ;   in Loop: Header=BB2_160 Depth=1
	s_mov_b64 s[10:11], s[0:1]
	s_mov_b32 s15, 0
	s_cbranch_execnz .LBB2_176
.LBB2_175:                              ;   in Loop: Header=BB2_160 Depth=1
	global_load_dwordx2 v[10:11], v26, s[0:1]
	s_add_i32 s15, s14, -8
.LBB2_176:                              ;   in Loop: Header=BB2_160 Depth=1
	s_add_u32 s0, s10, 8
	s_addc_u32 s1, s11, 0
	s_cmp_gt_u32 s15, 7
	s_cbranch_scc1 .LBB2_180
; %bb.177:                              ;   in Loop: Header=BB2_160 Depth=1
	s_cmp_eq_u32 s15, 0
	s_cbranch_scc1 .LBB2_181
; %bb.178:                              ;   in Loop: Header=BB2_160 Depth=1
	v_mov_b32_e32 v12, 0
	s_mov_b64 s[0:1], 0
	v_mov_b32_e32 v13, 0
	s_mov_b64 s[12:13], 0
.LBB2_179:                              ;   Parent Loop BB2_160 Depth=1
                                        ; =>  This Inner Loop Header: Depth=2
	s_add_u32 s16, s10, s12
	s_addc_u32 s17, s11, s13
	global_load_ubyte v6, v26, s[16:17]
	s_add_u32 s12, s12, 1
	s_addc_u32 s13, s13, 0
	s_waitcnt vmcnt(0)
	v_and_b32_e32 v25, 0xffff, v6
	v_lshlrev_b64 v[6:7], s0, v[25:26]
	s_add_u32 s0, s0, 8
	s_addc_u32 s1, s1, 0
	v_or_b32_e32 v12, v6, v12
	s_cmp_lg_u32 s15, s12
	v_or_b32_e32 v13, v7, v13
	s_cbranch_scc1 .LBB2_179
	s_branch .LBB2_182
.LBB2_180:                              ;   in Loop: Header=BB2_160 Depth=1
	s_mov_b32 s14, 0
	s_branch .LBB2_183
.LBB2_181:                              ;   in Loop: Header=BB2_160 Depth=1
	v_mov_b32_e32 v12, 0
	v_mov_b32_e32 v13, 0
.LBB2_182:                              ;   in Loop: Header=BB2_160 Depth=1
	s_mov_b64 s[0:1], s[10:11]
	s_mov_b32 s14, 0
	s_cbranch_execnz .LBB2_184
.LBB2_183:                              ;   in Loop: Header=BB2_160 Depth=1
	global_load_dwordx2 v[12:13], v26, s[10:11]
	s_add_i32 s14, s15, -8
.LBB2_184:                              ;   in Loop: Header=BB2_160 Depth=1
	s_add_u32 s10, s0, 8
	s_addc_u32 s11, s1, 0
	s_cmp_gt_u32 s14, 7
	s_cbranch_scc1 .LBB2_188
; %bb.185:                              ;   in Loop: Header=BB2_160 Depth=1
	s_cmp_eq_u32 s14, 0
	s_cbranch_scc1 .LBB2_189
; %bb.186:                              ;   in Loop: Header=BB2_160 Depth=1
	v_mov_b32_e32 v14, 0
	s_mov_b64 s[10:11], 0
	v_mov_b32_e32 v15, 0
	s_mov_b64 s[12:13], 0
.LBB2_187:                              ;   Parent Loop BB2_160 Depth=1
                                        ; =>  This Inner Loop Header: Depth=2
	s_add_u32 s16, s0, s12
	s_addc_u32 s17, s1, s13
	global_load_ubyte v6, v26, s[16:17]
	s_add_u32 s12, s12, 1
	s_addc_u32 s13, s13, 0
	s_waitcnt vmcnt(0)
	v_and_b32_e32 v25, 0xffff, v6
	v_lshlrev_b64 v[6:7], s10, v[25:26]
	s_add_u32 s10, s10, 8
	s_addc_u32 s11, s11, 0
	v_or_b32_e32 v14, v6, v14
	s_cmp_lg_u32 s14, s12
	v_or_b32_e32 v15, v7, v15
	s_cbranch_scc1 .LBB2_187
	s_branch .LBB2_190
.LBB2_188:                              ;   in Loop: Header=BB2_160 Depth=1
                                        ; implicit-def: $vgpr14_vgpr15
	s_mov_b32 s15, 0
	s_branch .LBB2_191
.LBB2_189:                              ;   in Loop: Header=BB2_160 Depth=1
	v_mov_b32_e32 v14, 0
	v_mov_b32_e32 v15, 0
.LBB2_190:                              ;   in Loop: Header=BB2_160 Depth=1
	s_mov_b64 s[10:11], s[0:1]
	s_mov_b32 s15, 0
	s_cbranch_execnz .LBB2_192
.LBB2_191:                              ;   in Loop: Header=BB2_160 Depth=1
	global_load_dwordx2 v[14:15], v26, s[0:1]
	s_add_i32 s15, s14, -8
.LBB2_192:                              ;   in Loop: Header=BB2_160 Depth=1
	s_add_u32 s0, s10, 8
	s_addc_u32 s1, s11, 0
	s_cmp_gt_u32 s15, 7
	s_cbranch_scc1 .LBB2_196
; %bb.193:                              ;   in Loop: Header=BB2_160 Depth=1
	s_cmp_eq_u32 s15, 0
	s_cbranch_scc1 .LBB2_197
; %bb.194:                              ;   in Loop: Header=BB2_160 Depth=1
	v_mov_b32_e32 v16, 0
	s_mov_b64 s[0:1], 0
	v_mov_b32_e32 v17, 0
	s_mov_b64 s[12:13], 0
.LBB2_195:                              ;   Parent Loop BB2_160 Depth=1
                                        ; =>  This Inner Loop Header: Depth=2
	s_add_u32 s16, s10, s12
	s_addc_u32 s17, s11, s13
	global_load_ubyte v6, v26, s[16:17]
	s_add_u32 s12, s12, 1
	s_addc_u32 s13, s13, 0
	s_waitcnt vmcnt(0)
	v_and_b32_e32 v25, 0xffff, v6
	v_lshlrev_b64 v[6:7], s0, v[25:26]
	s_add_u32 s0, s0, 8
	s_addc_u32 s1, s1, 0
	v_or_b32_e32 v16, v6, v16
	s_cmp_lg_u32 s15, s12
	v_or_b32_e32 v17, v7, v17
	s_cbranch_scc1 .LBB2_195
	s_branch .LBB2_198
.LBB2_196:                              ;   in Loop: Header=BB2_160 Depth=1
	s_mov_b32 s14, 0
	s_branch .LBB2_199
.LBB2_197:                              ;   in Loop: Header=BB2_160 Depth=1
	v_mov_b32_e32 v16, 0
	v_mov_b32_e32 v17, 0
.LBB2_198:                              ;   in Loop: Header=BB2_160 Depth=1
	s_mov_b64 s[0:1], s[10:11]
	s_mov_b32 s14, 0
	s_cbranch_execnz .LBB2_200
.LBB2_199:                              ;   in Loop: Header=BB2_160 Depth=1
	global_load_dwordx2 v[16:17], v26, s[10:11]
	s_add_i32 s14, s15, -8
.LBB2_200:                              ;   in Loop: Header=BB2_160 Depth=1
	s_add_u32 s10, s0, 8
	s_addc_u32 s11, s1, 0
	s_cmp_gt_u32 s14, 7
	s_cbranch_scc1 .LBB2_204
; %bb.201:                              ;   in Loop: Header=BB2_160 Depth=1
	s_cmp_eq_u32 s14, 0
	s_cbranch_scc1 .LBB2_205
; %bb.202:                              ;   in Loop: Header=BB2_160 Depth=1
	v_mov_b32_e32 v18, 0
	s_mov_b64 s[10:11], 0
	v_mov_b32_e32 v19, 0
	s_mov_b64 s[12:13], 0
.LBB2_203:                              ;   Parent Loop BB2_160 Depth=1
                                        ; =>  This Inner Loop Header: Depth=2
	s_add_u32 s16, s0, s12
	s_addc_u32 s17, s1, s13
	global_load_ubyte v6, v26, s[16:17]
	s_add_u32 s12, s12, 1
	s_addc_u32 s13, s13, 0
	s_waitcnt vmcnt(0)
	v_and_b32_e32 v25, 0xffff, v6
	v_lshlrev_b64 v[6:7], s10, v[25:26]
	s_add_u32 s10, s10, 8
	s_addc_u32 s11, s11, 0
	v_or_b32_e32 v18, v6, v18
	s_cmp_lg_u32 s14, s12
	v_or_b32_e32 v19, v7, v19
	s_cbranch_scc1 .LBB2_203
	s_branch .LBB2_206
.LBB2_204:                              ;   in Loop: Header=BB2_160 Depth=1
                                        ; implicit-def: $vgpr18_vgpr19
	s_mov_b32 s15, 0
	s_branch .LBB2_207
.LBB2_205:                              ;   in Loop: Header=BB2_160 Depth=1
	v_mov_b32_e32 v18, 0
	v_mov_b32_e32 v19, 0
.LBB2_206:                              ;   in Loop: Header=BB2_160 Depth=1
	s_mov_b64 s[10:11], s[0:1]
	s_mov_b32 s15, 0
	s_cbranch_execnz .LBB2_208
.LBB2_207:                              ;   in Loop: Header=BB2_160 Depth=1
	global_load_dwordx2 v[18:19], v26, s[0:1]
	s_add_i32 s15, s14, -8
.LBB2_208:                              ;   in Loop: Header=BB2_160 Depth=1
	s_cmp_gt_u32 s15, 7
	s_cbranch_scc1 .LBB2_212
; %bb.209:                              ;   in Loop: Header=BB2_160 Depth=1
	s_cmp_eq_u32 s15, 0
	s_cbranch_scc1 .LBB2_213
; %bb.210:                              ;   in Loop: Header=BB2_160 Depth=1
	v_mov_b32_e32 v20, 0
	s_mov_b64 s[0:1], 0
	v_mov_b32_e32 v21, 0
	s_mov_b64 s[12:13], s[10:11]
.LBB2_211:                              ;   Parent Loop BB2_160 Depth=1
                                        ; =>  This Inner Loop Header: Depth=2
	global_load_ubyte v6, v26, s[12:13]
	s_add_i32 s15, s15, -1
	s_waitcnt vmcnt(0)
	v_and_b32_e32 v25, 0xffff, v6
	v_lshlrev_b64 v[6:7], s0, v[25:26]
	s_add_u32 s0, s0, 8
	s_addc_u32 s1, s1, 0
	s_add_u32 s12, s12, 1
	s_addc_u32 s13, s13, 0
	v_or_b32_e32 v20, v6, v20
	s_cmp_lg_u32 s15, 0
	v_or_b32_e32 v21, v7, v21
	s_cbranch_scc1 .LBB2_211
	s_branch .LBB2_214
.LBB2_212:                              ;   in Loop: Header=BB2_160 Depth=1
	s_branch .LBB2_215
.LBB2_213:                              ;   in Loop: Header=BB2_160 Depth=1
	v_mov_b32_e32 v20, 0
	v_mov_b32_e32 v21, 0
.LBB2_214:                              ;   in Loop: Header=BB2_160 Depth=1
	s_cbranch_execnz .LBB2_216
.LBB2_215:                              ;   in Loop: Header=BB2_160 Depth=1
	global_load_dwordx2 v[20:21], v26, s[10:11]
.LBB2_216:                              ;   in Loop: Header=BB2_160 Depth=1
	v_readfirstlane_b32 s0, v32
	v_mov_b32_e32 v6, 0
	v_mov_b32_e32 v7, 0
	v_cmp_eq_u32_e64 s[0:1], s0, v32
	s_and_saveexec_b64 s[10:11], s[0:1]
	s_cbranch_execz .LBB2_222
; %bb.217:                              ;   in Loop: Header=BB2_160 Depth=1
	global_load_dwordx2 v[24:25], v26, s[2:3] offset:24 glc
	s_waitcnt vmcnt(0)
	buffer_wbinvl1_vol
	global_load_dwordx2 v[6:7], v26, s[2:3] offset:40
	global_load_dwordx2 v[22:23], v26, s[2:3]
	s_waitcnt vmcnt(1)
	v_and_b32_e32 v6, v6, v24
	v_and_b32_e32 v7, v7, v25
	v_mul_lo_u32 v7, v7, 24
	v_mul_hi_u32 v27, v6, 24
	v_mul_lo_u32 v6, v6, 24
	v_add_u32_e32 v7, v27, v7
	s_waitcnt vmcnt(0)
	v_add_co_u32_e32 v6, vcc, v22, v6
	v_addc_co_u32_e32 v7, vcc, v23, v7, vcc
	global_load_dwordx2 v[22:23], v[6:7], off glc
	s_waitcnt vmcnt(0)
	global_atomic_cmpswap_x2 v[6:7], v26, v[22:25], s[2:3] offset:24 glc
	s_waitcnt vmcnt(0)
	buffer_wbinvl1_vol
	v_cmp_ne_u64_e32 vcc, v[6:7], v[24:25]
	s_and_saveexec_b64 s[12:13], vcc
	s_cbranch_execz .LBB2_221
; %bb.218:                              ;   in Loop: Header=BB2_160 Depth=1
	s_mov_b64 s[14:15], 0
.LBB2_219:                              ;   Parent Loop BB2_160 Depth=1
                                        ; =>  This Inner Loop Header: Depth=2
	s_sleep 1
	global_load_dwordx2 v[22:23], v26, s[2:3] offset:40
	global_load_dwordx2 v[27:28], v26, s[2:3]
	v_mov_b32_e32 v25, v7
	v_mov_b32_e32 v24, v6
	s_waitcnt vmcnt(1)
	v_and_b32_e32 v6, v22, v24
	s_waitcnt vmcnt(0)
	v_mad_u64_u32 v[6:7], s[16:17], v6, 24, v[27:28]
	v_and_b32_e32 v22, v23, v25
	v_mad_u64_u32 v[22:23], s[16:17], v22, 24, v[7:8]
	v_mov_b32_e32 v7, v22
	global_load_dwordx2 v[22:23], v[6:7], off glc
	s_waitcnt vmcnt(0)
	global_atomic_cmpswap_x2 v[6:7], v26, v[22:25], s[2:3] offset:24 glc
	s_waitcnt vmcnt(0)
	buffer_wbinvl1_vol
	v_cmp_eq_u64_e32 vcc, v[6:7], v[24:25]
	s_or_b64 s[14:15], vcc, s[14:15]
	s_andn2_b64 exec, exec, s[14:15]
	s_cbranch_execnz .LBB2_219
; %bb.220:                              ;   in Loop: Header=BB2_160 Depth=1
	s_or_b64 exec, exec, s[14:15]
.LBB2_221:                              ;   in Loop: Header=BB2_160 Depth=1
	s_or_b64 exec, exec, s[12:13]
.LBB2_222:                              ;   in Loop: Header=BB2_160 Depth=1
	s_or_b64 exec, exec, s[10:11]
	global_load_dwordx2 v[27:28], v26, s[2:3] offset:40
	global_load_dwordx4 v[22:25], v26, s[2:3]
	v_readfirstlane_b32 s11, v7
	v_readfirstlane_b32 s10, v6
	s_mov_b64 s[12:13], exec
	s_waitcnt vmcnt(1)
	v_readfirstlane_b32 s14, v27
	v_readfirstlane_b32 s15, v28
	s_and_b64 s[14:15], s[14:15], s[10:11]
	s_mul_i32 s16, s15, 24
	s_mul_hi_u32 s17, s14, 24
	s_mul_i32 s18, s14, 24
	s_add_i32 s16, s17, s16
	v_mov_b32_e32 v6, s16
	s_waitcnt vmcnt(0)
	v_add_co_u32_e32 v27, vcc, s18, v22
	v_addc_co_u32_e32 v28, vcc, v23, v6, vcc
	s_and_saveexec_b64 s[16:17], s[0:1]
	s_cbranch_execz .LBB2_224
; %bb.223:                              ;   in Loop: Header=BB2_160 Depth=1
	v_mov_b32_e32 v6, s12
	v_mov_b32_e32 v7, s13
	global_store_dwordx4 v[27:28], v[6:9], off offset:8
.LBB2_224:                              ;   in Loop: Header=BB2_160 Depth=1
	s_or_b64 exec, exec, s[16:17]
	s_lshl_b64 s[12:13], s[14:15], 12
	v_mov_b32_e32 v6, s13
	v_add_co_u32_e32 v24, vcc, s12, v24
	v_addc_co_u32_e32 v30, vcc, v25, v6, vcc
	v_cmp_lt_u64_e64 vcc, s[6:7], 57
	s_lshl_b32 s12, s8, 2
	v_cndmask_b32_e32 v6, 0, v29, vcc
	s_add_i32 s12, s12, 28
	v_and_b32_e32 v0, 0xffffff1f, v0
	s_and_b32 s12, s12, 0x1e0
	v_or_b32_e32 v0, v0, v6
	v_or_b32_e32 v0, s12, v0
	v_readfirstlane_b32 s12, v24
	v_readfirstlane_b32 s13, v30
	s_nop 4
	global_store_dwordx4 v31, v[0:3], s[12:13]
	global_store_dwordx4 v31, v[10:13], s[12:13] offset:16
	global_store_dwordx4 v31, v[14:17], s[12:13] offset:32
	;; [unrolled: 1-line block ×3, first 2 shown]
	s_and_saveexec_b64 s[12:13], s[0:1]
	s_cbranch_execz .LBB2_232
; %bb.225:                              ;   in Loop: Header=BB2_160 Depth=1
	global_load_dwordx2 v[12:13], v26, s[2:3] offset:32 glc
	global_load_dwordx2 v[0:1], v26, s[2:3] offset:40
	v_mov_b32_e32 v10, s10
	v_mov_b32_e32 v11, s11
	s_waitcnt vmcnt(0)
	v_readfirstlane_b32 s14, v0
	v_readfirstlane_b32 s15, v1
	s_and_b64 s[14:15], s[14:15], s[10:11]
	s_mul_i32 s15, s15, 24
	s_mul_hi_u32 s16, s14, 24
	s_mul_i32 s14, s14, 24
	s_add_i32 s15, s16, s15
	v_mov_b32_e32 v0, s15
	v_add_co_u32_e32 v6, vcc, s14, v22
	v_addc_co_u32_e32 v7, vcc, v23, v0, vcc
	global_store_dwordx2 v[6:7], v[12:13], off
	s_waitcnt vmcnt(0)
	global_atomic_cmpswap_x2 v[2:3], v26, v[10:13], s[2:3] offset:32 glc
	s_waitcnt vmcnt(0)
	v_cmp_ne_u64_e32 vcc, v[2:3], v[12:13]
	s_and_saveexec_b64 s[14:15], vcc
	s_cbranch_execz .LBB2_228
; %bb.226:                              ;   in Loop: Header=BB2_160 Depth=1
	s_mov_b64 s[16:17], 0
.LBB2_227:                              ;   Parent Loop BB2_160 Depth=1
                                        ; =>  This Inner Loop Header: Depth=2
	s_sleep 1
	global_store_dwordx2 v[6:7], v[2:3], off
	v_mov_b32_e32 v0, s10
	v_mov_b32_e32 v1, s11
	s_waitcnt vmcnt(0)
	global_atomic_cmpswap_x2 v[0:1], v26, v[0:3], s[2:3] offset:32 glc
	s_waitcnt vmcnt(0)
	v_cmp_eq_u64_e32 vcc, v[0:1], v[2:3]
	v_mov_b32_e32 v3, v1
	s_or_b64 s[16:17], vcc, s[16:17]
	v_mov_b32_e32 v2, v0
	s_andn2_b64 exec, exec, s[16:17]
	s_cbranch_execnz .LBB2_227
.LBB2_228:                              ;   in Loop: Header=BB2_160 Depth=1
	s_or_b64 exec, exec, s[14:15]
	global_load_dwordx2 v[0:1], v26, s[2:3] offset:16
	s_mov_b64 s[16:17], exec
	v_mbcnt_lo_u32_b32 v2, s16, 0
	v_mbcnt_hi_u32_b32 v2, s17, v2
	v_cmp_eq_u32_e32 vcc, 0, v2
	s_and_saveexec_b64 s[14:15], vcc
	s_cbranch_execz .LBB2_230
; %bb.229:                              ;   in Loop: Header=BB2_160 Depth=1
	s_bcnt1_i32_b64 s16, s[16:17]
	v_mov_b32_e32 v25, s16
	s_waitcnt vmcnt(0)
	global_atomic_add_x2 v[0:1], v[25:26], off offset:8
.LBB2_230:                              ;   in Loop: Header=BB2_160 Depth=1
	s_or_b64 exec, exec, s[14:15]
	s_waitcnt vmcnt(0)
	global_load_dwordx2 v[2:3], v[0:1], off offset:16
	s_waitcnt vmcnt(0)
	v_cmp_eq_u64_e32 vcc, 0, v[2:3]
	s_cbranch_vccnz .LBB2_232
; %bb.231:                              ;   in Loop: Header=BB2_160 Depth=1
	global_load_dword v25, v[0:1], off offset:24
	s_waitcnt vmcnt(0)
	v_readfirstlane_b32 s14, v25
	s_and_b32 m0, s14, 0xffffff
	global_store_dwordx2 v[2:3], v[25:26], off
	s_sendmsg sendmsg(MSG_INTERRUPT)
.LBB2_232:                              ;   in Loop: Header=BB2_160 Depth=1
	s_or_b64 exec, exec, s[12:13]
	v_add_co_u32_e32 v0, vcc, v24, v31
	v_addc_co_u32_e32 v1, vcc, 0, v30, vcc
	s_branch .LBB2_236
.LBB2_233:                              ;   in Loop: Header=BB2_236 Depth=2
	s_or_b64 exec, exec, s[12:13]
	v_readfirstlane_b32 s12, v2
	s_cmp_eq_u32 s12, 0
	s_cbranch_scc1 .LBB2_235
; %bb.234:                              ;   in Loop: Header=BB2_236 Depth=2
	s_sleep 1
	s_cbranch_execnz .LBB2_236
	s_branch .LBB2_238
.LBB2_235:                              ;   in Loop: Header=BB2_160 Depth=1
	s_branch .LBB2_238
.LBB2_236:                              ;   Parent Loop BB2_160 Depth=1
                                        ; =>  This Inner Loop Header: Depth=2
	v_mov_b32_e32 v2, 1
	s_and_saveexec_b64 s[12:13], s[0:1]
	s_cbranch_execz .LBB2_233
; %bb.237:                              ;   in Loop: Header=BB2_236 Depth=2
	global_load_dword v2, v[27:28], off offset:20 glc
	s_waitcnt vmcnt(0)
	buffer_wbinvl1_vol
	v_and_b32_e32 v2, 1, v2
	s_branch .LBB2_233
.LBB2_238:                              ;   in Loop: Header=BB2_160 Depth=1
	global_load_dwordx2 v[0:1], v[0:1], off
	s_and_saveexec_b64 s[12:13], s[0:1]
	s_cbranch_execz .LBB2_159
; %bb.239:                              ;   in Loop: Header=BB2_160 Depth=1
	global_load_dwordx2 v[2:3], v26, s[2:3] offset:40
	global_load_dwordx2 v[14:15], v26, s[2:3] offset:24 glc
	global_load_dwordx2 v[6:7], v26, s[2:3]
	s_waitcnt vmcnt(2)
	v_readfirstlane_b32 s14, v2
	v_readfirstlane_b32 s15, v3
	s_add_u32 s16, s14, 1
	s_addc_u32 s17, s15, 0
	s_add_u32 s0, s16, s10
	s_addc_u32 s1, s17, s11
	s_cmp_eq_u64 s[0:1], 0
	s_cselect_b32 s1, s17, s1
	s_cselect_b32 s0, s16, s0
	s_and_b64 s[10:11], s[0:1], s[14:15]
	s_mul_i32 s11, s11, 24
	s_mul_hi_u32 s14, s10, 24
	s_mul_i32 s10, s10, 24
	s_add_i32 s11, s14, s11
	v_mov_b32_e32 v3, s11
	s_waitcnt vmcnt(0)
	v_add_co_u32_e32 v2, vcc, s10, v6
	v_addc_co_u32_e32 v3, vcc, v7, v3, vcc
	v_mov_b32_e32 v12, s0
	global_store_dwordx2 v[2:3], v[14:15], off
	v_mov_b32_e32 v13, s1
	s_waitcnt vmcnt(0)
	global_atomic_cmpswap_x2 v[12:13], v26, v[12:15], s[2:3] offset:24 glc
	s_waitcnt vmcnt(0)
	v_cmp_ne_u64_e32 vcc, v[12:13], v[14:15]
	s_and_b64 exec, exec, vcc
	s_cbranch_execz .LBB2_159
; %bb.240:                              ;   in Loop: Header=BB2_160 Depth=1
	s_mov_b64 s[10:11], 0
.LBB2_241:                              ;   Parent Loop BB2_160 Depth=1
                                        ; =>  This Inner Loop Header: Depth=2
	s_sleep 1
	global_store_dwordx2 v[2:3], v[12:13], off
	v_mov_b32_e32 v10, s0
	v_mov_b32_e32 v11, s1
	s_waitcnt vmcnt(0)
	global_atomic_cmpswap_x2 v[6:7], v26, v[10:13], s[2:3] offset:24 glc
	s_waitcnt vmcnt(0)
	v_cmp_eq_u64_e32 vcc, v[6:7], v[12:13]
	v_mov_b32_e32 v13, v7
	s_or_b64 s[10:11], vcc, s[10:11]
	v_mov_b32_e32 v12, v6
	s_andn2_b64 exec, exec, s[10:11]
	s_cbranch_execnz .LBB2_241
	s_branch .LBB2_159
.LBB2_242:
	s_mov_b64 s[0:1], -1
                                        ; implicit-def: $vgpr0_vgpr1
	s_branch .LBB2_244
.LBB2_243:
	s_mov_b64 s[0:1], 0
.LBB2_244:
	s_and_b64 vcc, exec, s[0:1]
	s_cbranch_vccz .LBB2_271
; %bb.245:
	v_readfirstlane_b32 s0, v32
	v_mov_b32_e32 v7, 0
	v_mov_b32_e32 v8, 0
	v_cmp_eq_u32_e64 s[0:1], s0, v32
	s_and_saveexec_b64 s[4:5], s[0:1]
	s_cbranch_execz .LBB2_251
; %bb.246:
	s_waitcnt vmcnt(0)
	v_mov_b32_e32 v0, 0
	global_load_dwordx2 v[9:10], v0, s[2:3] offset:24 glc
	s_waitcnt vmcnt(0)
	buffer_wbinvl1_vol
	global_load_dwordx2 v[1:2], v0, s[2:3] offset:40
	global_load_dwordx2 v[6:7], v0, s[2:3]
	s_waitcnt vmcnt(1)
	v_and_b32_e32 v1, v1, v9
	v_and_b32_e32 v2, v2, v10
	v_mul_lo_u32 v2, v2, 24
	v_mul_hi_u32 v3, v1, 24
	v_mul_lo_u32 v1, v1, 24
	v_add_u32_e32 v2, v3, v2
	s_waitcnt vmcnt(0)
	v_add_co_u32_e32 v1, vcc, v6, v1
	v_addc_co_u32_e32 v2, vcc, v7, v2, vcc
	global_load_dwordx2 v[7:8], v[1:2], off glc
	s_waitcnt vmcnt(0)
	global_atomic_cmpswap_x2 v[7:8], v0, v[7:10], s[2:3] offset:24 glc
	s_waitcnt vmcnt(0)
	buffer_wbinvl1_vol
	v_cmp_ne_u64_e32 vcc, v[7:8], v[9:10]
	s_and_saveexec_b64 s[6:7], vcc
	s_cbranch_execz .LBB2_250
; %bb.247:
	s_mov_b64 s[8:9], 0
.LBB2_248:                              ; =>This Inner Loop Header: Depth=1
	s_sleep 1
	global_load_dwordx2 v[1:2], v0, s[2:3] offset:40
	global_load_dwordx2 v[11:12], v0, s[2:3]
	v_mov_b32_e32 v10, v8
	v_mov_b32_e32 v9, v7
	s_waitcnt vmcnt(1)
	v_and_b32_e32 v1, v1, v9
	s_waitcnt vmcnt(0)
	v_mad_u64_u32 v[6:7], s[10:11], v1, 24, v[11:12]
	v_and_b32_e32 v2, v2, v10
	v_mov_b32_e32 v1, v7
	v_mad_u64_u32 v[1:2], s[10:11], v2, 24, v[1:2]
	v_mov_b32_e32 v7, v1
	global_load_dwordx2 v[7:8], v[6:7], off glc
	s_waitcnt vmcnt(0)
	global_atomic_cmpswap_x2 v[7:8], v0, v[7:10], s[2:3] offset:24 glc
	s_waitcnt vmcnt(0)
	buffer_wbinvl1_vol
	v_cmp_eq_u64_e32 vcc, v[7:8], v[9:10]
	s_or_b64 s[8:9], vcc, s[8:9]
	s_andn2_b64 exec, exec, s[8:9]
	s_cbranch_execnz .LBB2_248
; %bb.249:
	s_or_b64 exec, exec, s[8:9]
.LBB2_250:
	s_or_b64 exec, exec, s[6:7]
.LBB2_251:
	s_or_b64 exec, exec, s[4:5]
	v_mov_b32_e32 v6, 0
	global_load_dwordx2 v[9:10], v6, s[2:3] offset:40
	global_load_dwordx4 v[0:3], v6, s[2:3]
	v_readfirstlane_b32 s5, v8
	v_readfirstlane_b32 s4, v7
	s_mov_b64 s[6:7], exec
	s_waitcnt vmcnt(1)
	v_readfirstlane_b32 s8, v9
	v_readfirstlane_b32 s9, v10
	s_and_b64 s[8:9], s[8:9], s[4:5]
	s_mul_i32 s10, s9, 24
	s_mul_hi_u32 s11, s8, 24
	s_mul_i32 s12, s8, 24
	s_add_i32 s10, s11, s10
	v_mov_b32_e32 v7, s10
	s_waitcnt vmcnt(0)
	v_add_co_u32_e32 v8, vcc, s12, v0
	v_addc_co_u32_e32 v9, vcc, v1, v7, vcc
	s_and_saveexec_b64 s[10:11], s[0:1]
	s_cbranch_execz .LBB2_253
; %bb.252:
	v_mov_b32_e32 v11, s7
	v_mov_b32_e32 v10, s6
	;; [unrolled: 1-line block ×4, first 2 shown]
	global_store_dwordx4 v[8:9], v[10:13], off offset:8
.LBB2_253:
	s_or_b64 exec, exec, s[10:11]
	s_lshl_b64 s[6:7], s[8:9], 12
	v_mov_b32_e32 v7, s7
	v_add_co_u32_e32 v2, vcc, s6, v2
	v_addc_co_u32_e32 v3, vcc, v3, v7, vcc
	s_movk_i32 s6, 0xff1f
	v_and_or_b32 v4, v4, s6, 32
	v_add_co_u32_e32 v10, vcc, v2, v31
	s_mov_b32 s8, 0
	v_mov_b32_e32 v7, v6
	v_readfirstlane_b32 s6, v2
	v_readfirstlane_b32 s7, v3
	v_addc_co_u32_e32 v11, vcc, 0, v3, vcc
	s_mov_b32 s9, s8
	s_mov_b32 s10, s8
	;; [unrolled: 1-line block ×3, first 2 shown]
	s_nop 0
	global_store_dwordx4 v31, v[4:7], s[6:7]
	v_mov_b32_e32 v2, s8
	v_mov_b32_e32 v3, s9
	;; [unrolled: 1-line block ×4, first 2 shown]
	global_store_dwordx4 v31, v[2:5], s[6:7] offset:16
	global_store_dwordx4 v31, v[2:5], s[6:7] offset:32
	;; [unrolled: 1-line block ×3, first 2 shown]
	s_and_saveexec_b64 s[6:7], s[0:1]
	s_cbranch_execz .LBB2_261
; %bb.254:
	v_mov_b32_e32 v6, 0
	global_load_dwordx2 v[14:15], v6, s[2:3] offset:32 glc
	global_load_dwordx2 v[2:3], v6, s[2:3] offset:40
	v_mov_b32_e32 v12, s4
	v_mov_b32_e32 v13, s5
	s_waitcnt vmcnt(0)
	v_readfirstlane_b32 s8, v2
	v_readfirstlane_b32 s9, v3
	s_and_b64 s[8:9], s[8:9], s[4:5]
	s_mul_i32 s9, s9, 24
	s_mul_hi_u32 s10, s8, 24
	s_mul_i32 s8, s8, 24
	s_add_i32 s9, s10, s9
	v_mov_b32_e32 v2, s9
	v_add_co_u32_e32 v4, vcc, s8, v0
	v_addc_co_u32_e32 v5, vcc, v1, v2, vcc
	global_store_dwordx2 v[4:5], v[14:15], off
	s_waitcnt vmcnt(0)
	global_atomic_cmpswap_x2 v[2:3], v6, v[12:15], s[2:3] offset:32 glc
	s_waitcnt vmcnt(0)
	v_cmp_ne_u64_e32 vcc, v[2:3], v[14:15]
	s_and_saveexec_b64 s[8:9], vcc
	s_cbranch_execz .LBB2_257
; %bb.255:
	s_mov_b64 s[10:11], 0
.LBB2_256:                              ; =>This Inner Loop Header: Depth=1
	s_sleep 1
	global_store_dwordx2 v[4:5], v[2:3], off
	v_mov_b32_e32 v0, s4
	v_mov_b32_e32 v1, s5
	s_waitcnt vmcnt(0)
	global_atomic_cmpswap_x2 v[0:1], v6, v[0:3], s[2:3] offset:32 glc
	s_waitcnt vmcnt(0)
	v_cmp_eq_u64_e32 vcc, v[0:1], v[2:3]
	v_mov_b32_e32 v3, v1
	s_or_b64 s[10:11], vcc, s[10:11]
	v_mov_b32_e32 v2, v0
	s_andn2_b64 exec, exec, s[10:11]
	s_cbranch_execnz .LBB2_256
.LBB2_257:
	s_or_b64 exec, exec, s[8:9]
	v_mov_b32_e32 v3, 0
	global_load_dwordx2 v[0:1], v3, s[2:3] offset:16
	s_mov_b64 s[8:9], exec
	v_mbcnt_lo_u32_b32 v2, s8, 0
	v_mbcnt_hi_u32_b32 v2, s9, v2
	v_cmp_eq_u32_e32 vcc, 0, v2
	s_and_saveexec_b64 s[10:11], vcc
	s_cbranch_execz .LBB2_259
; %bb.258:
	s_bcnt1_i32_b64 s8, s[8:9]
	v_mov_b32_e32 v2, s8
	s_waitcnt vmcnt(0)
	global_atomic_add_x2 v[0:1], v[2:3], off offset:8
.LBB2_259:
	s_or_b64 exec, exec, s[10:11]
	s_waitcnt vmcnt(0)
	global_load_dwordx2 v[2:3], v[0:1], off offset:16
	s_waitcnt vmcnt(0)
	v_cmp_eq_u64_e32 vcc, 0, v[2:3]
	s_cbranch_vccnz .LBB2_261
; %bb.260:
	global_load_dword v0, v[0:1], off offset:24
	v_mov_b32_e32 v1, 0
	s_waitcnt vmcnt(0)
	v_readfirstlane_b32 s8, v0
	s_and_b32 m0, s8, 0xffffff
	global_store_dwordx2 v[2:3], v[0:1], off
	s_sendmsg sendmsg(MSG_INTERRUPT)
.LBB2_261:
	s_or_b64 exec, exec, s[6:7]
	s_branch .LBB2_265
.LBB2_262:                              ;   in Loop: Header=BB2_265 Depth=1
	s_or_b64 exec, exec, s[6:7]
	v_readfirstlane_b32 s6, v0
	s_cmp_eq_u32 s6, 0
	s_cbranch_scc1 .LBB2_264
; %bb.263:                              ;   in Loop: Header=BB2_265 Depth=1
	s_sleep 1
	s_cbranch_execnz .LBB2_265
	s_branch .LBB2_267
.LBB2_264:
	s_branch .LBB2_267
.LBB2_265:                              ; =>This Inner Loop Header: Depth=1
	v_mov_b32_e32 v0, 1
	s_and_saveexec_b64 s[6:7], s[0:1]
	s_cbranch_execz .LBB2_262
; %bb.266:                              ;   in Loop: Header=BB2_265 Depth=1
	global_load_dword v0, v[8:9], off offset:20 glc
	s_waitcnt vmcnt(0)
	buffer_wbinvl1_vol
	v_and_b32_e32 v0, 1, v0
	s_branch .LBB2_262
.LBB2_267:
	global_load_dwordx2 v[0:1], v[10:11], off
	s_and_saveexec_b64 s[6:7], s[0:1]
	s_cbranch_execz .LBB2_270
; %bb.268:
	v_mov_b32_e32 v8, 0
	global_load_dwordx2 v[2:3], v8, s[2:3] offset:40
	global_load_dwordx2 v[11:12], v8, s[2:3] offset:24 glc
	global_load_dwordx2 v[4:5], v8, s[2:3]
	s_waitcnt vmcnt(2)
	v_readfirstlane_b32 s8, v2
	v_readfirstlane_b32 s9, v3
	s_add_u32 s10, s8, 1
	s_addc_u32 s11, s9, 0
	s_add_u32 s0, s10, s4
	s_addc_u32 s1, s11, s5
	s_cmp_eq_u64 s[0:1], 0
	s_cselect_b32 s1, s11, s1
	s_cselect_b32 s0, s10, s0
	s_and_b64 s[4:5], s[0:1], s[8:9]
	s_mul_i32 s5, s5, 24
	s_mul_hi_u32 s8, s4, 24
	s_mul_i32 s4, s4, 24
	s_add_i32 s5, s8, s5
	v_mov_b32_e32 v2, s5
	s_waitcnt vmcnt(0)
	v_add_co_u32_e32 v6, vcc, s4, v4
	v_addc_co_u32_e32 v7, vcc, v5, v2, vcc
	v_mov_b32_e32 v9, s0
	global_store_dwordx2 v[6:7], v[11:12], off
	v_mov_b32_e32 v10, s1
	s_waitcnt vmcnt(0)
	global_atomic_cmpswap_x2 v[4:5], v8, v[9:12], s[2:3] offset:24 glc
	s_mov_b64 s[4:5], 0
	s_waitcnt vmcnt(0)
	v_cmp_ne_u64_e32 vcc, v[4:5], v[11:12]
	s_and_b64 exec, exec, vcc
	s_cbranch_execz .LBB2_270
.LBB2_269:                              ; =>This Inner Loop Header: Depth=1
	s_sleep 1
	global_store_dwordx2 v[6:7], v[4:5], off
	v_mov_b32_e32 v2, s0
	v_mov_b32_e32 v3, s1
	s_waitcnt vmcnt(0)
	global_atomic_cmpswap_x2 v[2:3], v8, v[2:5], s[2:3] offset:24 glc
	s_waitcnt vmcnt(0)
	v_cmp_eq_u64_e32 vcc, v[2:3], v[4:5]
	v_mov_b32_e32 v5, v3
	s_or_b64 s[4:5], vcc, s[4:5]
	v_mov_b32_e32 v4, v2
	s_andn2_b64 exec, exec, s[4:5]
	s_cbranch_execnz .LBB2_269
.LBB2_270:
	s_or_b64 exec, exec, s[6:7]
.LBB2_271:
	s_getpc_b64 s[4:5]
	s_add_u32 s4, s4, __FUNCTION__._ZN9rocsparseL39csr2csr_compress_fill_warp_start_deviceILj256ELj32ELj2EfEEviPKT2_PjS1_@rel32@lo+4
	s_addc_u32 s5, s5, __FUNCTION__._ZN9rocsparseL39csr2csr_compress_fill_warp_start_deviceILj256ELj32ELj2EfEEviPKT2_PjS1_@rel32@hi+12
	s_cmp_lg_u64 s[4:5], 0
	s_cbranch_scc0 .LBB2_356
; %bb.272:
	s_waitcnt vmcnt(0)
	v_and_b32_e32 v29, 2, v0
	v_mov_b32_e32 v26, 0
	v_and_b32_e32 v2, -3, v0
	v_mov_b32_e32 v3, v1
	s_mov_b64 s[6:7], 40
	v_mov_b32_e32 v8, 2
	v_mov_b32_e32 v9, 1
	s_branch .LBB2_274
.LBB2_273:                              ;   in Loop: Header=BB2_274 Depth=1
	s_or_b64 exec, exec, s[12:13]
	s_sub_u32 s6, s6, s8
	s_subb_u32 s7, s7, s9
	s_add_u32 s4, s4, s8
	s_addc_u32 s5, s5, s9
	s_cmp_lg_u64 s[6:7], 0
	s_cbranch_scc0 .LBB2_357
.LBB2_274:                              ; =>This Loop Header: Depth=1
                                        ;     Child Loop BB2_277 Depth 2
                                        ;     Child Loop BB2_285 Depth 2
	;; [unrolled: 1-line block ×11, first 2 shown]
	v_cmp_lt_u64_e64 s[0:1], s[6:7], 56
	v_cmp_gt_u64_e64 s[10:11], s[6:7], 7
	s_and_b64 s[0:1], s[0:1], exec
	s_cselect_b32 s9, s7, 0
	s_cselect_b32 s8, s6, 56
	s_add_u32 s0, s4, 8
	s_addc_u32 s1, s5, 0
	s_and_b64 vcc, exec, s[10:11]
	s_cbranch_vccnz .LBB2_278
; %bb.275:                              ;   in Loop: Header=BB2_274 Depth=1
	s_cmp_eq_u64 s[6:7], 0
	s_cbranch_scc1 .LBB2_279
; %bb.276:                              ;   in Loop: Header=BB2_274 Depth=1
	v_mov_b32_e32 v4, 0
	s_lshl_b64 s[0:1], s[8:9], 3
	s_mov_b64 s[10:11], 0
	v_mov_b32_e32 v5, 0
	s_mov_b64 s[12:13], s[4:5]
.LBB2_277:                              ;   Parent Loop BB2_274 Depth=1
                                        ; =>  This Inner Loop Header: Depth=2
	global_load_ubyte v6, v26, s[12:13]
	s_waitcnt vmcnt(0)
	v_and_b32_e32 v25, 0xffff, v6
	v_lshlrev_b64 v[6:7], s10, v[25:26]
	s_add_u32 s10, s10, 8
	s_addc_u32 s11, s11, 0
	s_add_u32 s12, s12, 1
	s_addc_u32 s13, s13, 0
	v_or_b32_e32 v4, v6, v4
	s_cmp_lg_u32 s0, s10
	v_or_b32_e32 v5, v7, v5
	s_cbranch_scc1 .LBB2_277
	s_branch .LBB2_280
.LBB2_278:                              ;   in Loop: Header=BB2_274 Depth=1
	s_mov_b32 s14, 0
	s_branch .LBB2_281
.LBB2_279:                              ;   in Loop: Header=BB2_274 Depth=1
	v_mov_b32_e32 v4, 0
	v_mov_b32_e32 v5, 0
.LBB2_280:                              ;   in Loop: Header=BB2_274 Depth=1
	s_mov_b64 s[0:1], s[4:5]
	s_mov_b32 s14, 0
	s_cbranch_execnz .LBB2_282
.LBB2_281:                              ;   in Loop: Header=BB2_274 Depth=1
	global_load_dwordx2 v[4:5], v26, s[4:5]
	s_add_i32 s14, s8, -8
.LBB2_282:                              ;   in Loop: Header=BB2_274 Depth=1
	s_add_u32 s10, s0, 8
	s_addc_u32 s11, s1, 0
	s_cmp_gt_u32 s14, 7
	s_cbranch_scc1 .LBB2_286
; %bb.283:                              ;   in Loop: Header=BB2_274 Depth=1
	s_cmp_eq_u32 s14, 0
	s_cbranch_scc1 .LBB2_287
; %bb.284:                              ;   in Loop: Header=BB2_274 Depth=1
	v_mov_b32_e32 v10, 0
	s_mov_b64 s[10:11], 0
	v_mov_b32_e32 v11, 0
	s_mov_b64 s[12:13], 0
.LBB2_285:                              ;   Parent Loop BB2_274 Depth=1
                                        ; =>  This Inner Loop Header: Depth=2
	s_add_u32 s16, s0, s12
	s_addc_u32 s17, s1, s13
	global_load_ubyte v6, v26, s[16:17]
	s_add_u32 s12, s12, 1
	s_addc_u32 s13, s13, 0
	s_waitcnt vmcnt(0)
	v_and_b32_e32 v25, 0xffff, v6
	v_lshlrev_b64 v[6:7], s10, v[25:26]
	s_add_u32 s10, s10, 8
	s_addc_u32 s11, s11, 0
	v_or_b32_e32 v10, v6, v10
	s_cmp_lg_u32 s14, s12
	v_or_b32_e32 v11, v7, v11
	s_cbranch_scc1 .LBB2_285
	s_branch .LBB2_288
.LBB2_286:                              ;   in Loop: Header=BB2_274 Depth=1
                                        ; implicit-def: $vgpr10_vgpr11
	s_mov_b32 s15, 0
	s_branch .LBB2_289
.LBB2_287:                              ;   in Loop: Header=BB2_274 Depth=1
	v_mov_b32_e32 v10, 0
	v_mov_b32_e32 v11, 0
.LBB2_288:                              ;   in Loop: Header=BB2_274 Depth=1
	s_mov_b64 s[10:11], s[0:1]
	s_mov_b32 s15, 0
	s_cbranch_execnz .LBB2_290
.LBB2_289:                              ;   in Loop: Header=BB2_274 Depth=1
	global_load_dwordx2 v[10:11], v26, s[0:1]
	s_add_i32 s15, s14, -8
.LBB2_290:                              ;   in Loop: Header=BB2_274 Depth=1
	s_add_u32 s0, s10, 8
	s_addc_u32 s1, s11, 0
	s_cmp_gt_u32 s15, 7
	s_cbranch_scc1 .LBB2_294
; %bb.291:                              ;   in Loop: Header=BB2_274 Depth=1
	s_cmp_eq_u32 s15, 0
	s_cbranch_scc1 .LBB2_295
; %bb.292:                              ;   in Loop: Header=BB2_274 Depth=1
	v_mov_b32_e32 v12, 0
	s_mov_b64 s[0:1], 0
	v_mov_b32_e32 v13, 0
	s_mov_b64 s[12:13], 0
.LBB2_293:                              ;   Parent Loop BB2_274 Depth=1
                                        ; =>  This Inner Loop Header: Depth=2
	s_add_u32 s16, s10, s12
	s_addc_u32 s17, s11, s13
	global_load_ubyte v6, v26, s[16:17]
	s_add_u32 s12, s12, 1
	s_addc_u32 s13, s13, 0
	s_waitcnt vmcnt(0)
	v_and_b32_e32 v25, 0xffff, v6
	v_lshlrev_b64 v[6:7], s0, v[25:26]
	s_add_u32 s0, s0, 8
	s_addc_u32 s1, s1, 0
	v_or_b32_e32 v12, v6, v12
	s_cmp_lg_u32 s15, s12
	v_or_b32_e32 v13, v7, v13
	s_cbranch_scc1 .LBB2_293
	s_branch .LBB2_296
.LBB2_294:                              ;   in Loop: Header=BB2_274 Depth=1
	s_mov_b32 s14, 0
	s_branch .LBB2_297
.LBB2_295:                              ;   in Loop: Header=BB2_274 Depth=1
	v_mov_b32_e32 v12, 0
	v_mov_b32_e32 v13, 0
.LBB2_296:                              ;   in Loop: Header=BB2_274 Depth=1
	s_mov_b64 s[0:1], s[10:11]
	s_mov_b32 s14, 0
	s_cbranch_execnz .LBB2_298
.LBB2_297:                              ;   in Loop: Header=BB2_274 Depth=1
	global_load_dwordx2 v[12:13], v26, s[10:11]
	s_add_i32 s14, s15, -8
.LBB2_298:                              ;   in Loop: Header=BB2_274 Depth=1
	s_add_u32 s10, s0, 8
	s_addc_u32 s11, s1, 0
	s_cmp_gt_u32 s14, 7
	s_cbranch_scc1 .LBB2_302
; %bb.299:                              ;   in Loop: Header=BB2_274 Depth=1
	s_cmp_eq_u32 s14, 0
	s_cbranch_scc1 .LBB2_303
; %bb.300:                              ;   in Loop: Header=BB2_274 Depth=1
	v_mov_b32_e32 v14, 0
	s_mov_b64 s[10:11], 0
	v_mov_b32_e32 v15, 0
	s_mov_b64 s[12:13], 0
.LBB2_301:                              ;   Parent Loop BB2_274 Depth=1
                                        ; =>  This Inner Loop Header: Depth=2
	s_add_u32 s16, s0, s12
	s_addc_u32 s17, s1, s13
	global_load_ubyte v6, v26, s[16:17]
	s_add_u32 s12, s12, 1
	s_addc_u32 s13, s13, 0
	s_waitcnt vmcnt(0)
	v_and_b32_e32 v25, 0xffff, v6
	v_lshlrev_b64 v[6:7], s10, v[25:26]
	s_add_u32 s10, s10, 8
	s_addc_u32 s11, s11, 0
	v_or_b32_e32 v14, v6, v14
	s_cmp_lg_u32 s14, s12
	v_or_b32_e32 v15, v7, v15
	s_cbranch_scc1 .LBB2_301
	s_branch .LBB2_304
.LBB2_302:                              ;   in Loop: Header=BB2_274 Depth=1
                                        ; implicit-def: $vgpr14_vgpr15
	s_mov_b32 s15, 0
	s_branch .LBB2_305
.LBB2_303:                              ;   in Loop: Header=BB2_274 Depth=1
	v_mov_b32_e32 v14, 0
	v_mov_b32_e32 v15, 0
.LBB2_304:                              ;   in Loop: Header=BB2_274 Depth=1
	s_mov_b64 s[10:11], s[0:1]
	s_mov_b32 s15, 0
	s_cbranch_execnz .LBB2_306
.LBB2_305:                              ;   in Loop: Header=BB2_274 Depth=1
	global_load_dwordx2 v[14:15], v26, s[0:1]
	s_add_i32 s15, s14, -8
.LBB2_306:                              ;   in Loop: Header=BB2_274 Depth=1
	s_add_u32 s0, s10, 8
	s_addc_u32 s1, s11, 0
	s_cmp_gt_u32 s15, 7
	s_cbranch_scc1 .LBB2_310
; %bb.307:                              ;   in Loop: Header=BB2_274 Depth=1
	s_cmp_eq_u32 s15, 0
	s_cbranch_scc1 .LBB2_311
; %bb.308:                              ;   in Loop: Header=BB2_274 Depth=1
	v_mov_b32_e32 v16, 0
	s_mov_b64 s[0:1], 0
	v_mov_b32_e32 v17, 0
	s_mov_b64 s[12:13], 0
.LBB2_309:                              ;   Parent Loop BB2_274 Depth=1
                                        ; =>  This Inner Loop Header: Depth=2
	s_add_u32 s16, s10, s12
	s_addc_u32 s17, s11, s13
	global_load_ubyte v6, v26, s[16:17]
	s_add_u32 s12, s12, 1
	s_addc_u32 s13, s13, 0
	s_waitcnt vmcnt(0)
	v_and_b32_e32 v25, 0xffff, v6
	v_lshlrev_b64 v[6:7], s0, v[25:26]
	s_add_u32 s0, s0, 8
	s_addc_u32 s1, s1, 0
	v_or_b32_e32 v16, v6, v16
	s_cmp_lg_u32 s15, s12
	v_or_b32_e32 v17, v7, v17
	s_cbranch_scc1 .LBB2_309
	s_branch .LBB2_312
.LBB2_310:                              ;   in Loop: Header=BB2_274 Depth=1
	s_mov_b32 s14, 0
	s_branch .LBB2_313
.LBB2_311:                              ;   in Loop: Header=BB2_274 Depth=1
	v_mov_b32_e32 v16, 0
	v_mov_b32_e32 v17, 0
.LBB2_312:                              ;   in Loop: Header=BB2_274 Depth=1
	s_mov_b64 s[0:1], s[10:11]
	s_mov_b32 s14, 0
	s_cbranch_execnz .LBB2_314
.LBB2_313:                              ;   in Loop: Header=BB2_274 Depth=1
	global_load_dwordx2 v[16:17], v26, s[10:11]
	s_add_i32 s14, s15, -8
.LBB2_314:                              ;   in Loop: Header=BB2_274 Depth=1
	s_add_u32 s10, s0, 8
	s_addc_u32 s11, s1, 0
	s_cmp_gt_u32 s14, 7
	s_cbranch_scc1 .LBB2_318
; %bb.315:                              ;   in Loop: Header=BB2_274 Depth=1
	s_cmp_eq_u32 s14, 0
	s_cbranch_scc1 .LBB2_319
; %bb.316:                              ;   in Loop: Header=BB2_274 Depth=1
	v_mov_b32_e32 v18, 0
	s_mov_b64 s[10:11], 0
	v_mov_b32_e32 v19, 0
	s_mov_b64 s[12:13], 0
.LBB2_317:                              ;   Parent Loop BB2_274 Depth=1
                                        ; =>  This Inner Loop Header: Depth=2
	s_add_u32 s16, s0, s12
	s_addc_u32 s17, s1, s13
	global_load_ubyte v6, v26, s[16:17]
	s_add_u32 s12, s12, 1
	s_addc_u32 s13, s13, 0
	s_waitcnt vmcnt(0)
	v_and_b32_e32 v25, 0xffff, v6
	v_lshlrev_b64 v[6:7], s10, v[25:26]
	s_add_u32 s10, s10, 8
	s_addc_u32 s11, s11, 0
	v_or_b32_e32 v18, v6, v18
	s_cmp_lg_u32 s14, s12
	v_or_b32_e32 v19, v7, v19
	s_cbranch_scc1 .LBB2_317
	s_branch .LBB2_320
.LBB2_318:                              ;   in Loop: Header=BB2_274 Depth=1
                                        ; implicit-def: $vgpr18_vgpr19
	s_mov_b32 s15, 0
	s_branch .LBB2_321
.LBB2_319:                              ;   in Loop: Header=BB2_274 Depth=1
	v_mov_b32_e32 v18, 0
	v_mov_b32_e32 v19, 0
.LBB2_320:                              ;   in Loop: Header=BB2_274 Depth=1
	s_mov_b64 s[10:11], s[0:1]
	s_mov_b32 s15, 0
	s_cbranch_execnz .LBB2_322
.LBB2_321:                              ;   in Loop: Header=BB2_274 Depth=1
	global_load_dwordx2 v[18:19], v26, s[0:1]
	s_add_i32 s15, s14, -8
.LBB2_322:                              ;   in Loop: Header=BB2_274 Depth=1
	s_cmp_gt_u32 s15, 7
	s_cbranch_scc1 .LBB2_326
; %bb.323:                              ;   in Loop: Header=BB2_274 Depth=1
	s_cmp_eq_u32 s15, 0
	s_cbranch_scc1 .LBB2_327
; %bb.324:                              ;   in Loop: Header=BB2_274 Depth=1
	v_mov_b32_e32 v20, 0
	s_mov_b64 s[0:1], 0
	v_mov_b32_e32 v21, 0
	s_mov_b64 s[12:13], s[10:11]
.LBB2_325:                              ;   Parent Loop BB2_274 Depth=1
                                        ; =>  This Inner Loop Header: Depth=2
	global_load_ubyte v6, v26, s[12:13]
	s_add_i32 s15, s15, -1
	s_waitcnt vmcnt(0)
	v_and_b32_e32 v25, 0xffff, v6
	v_lshlrev_b64 v[6:7], s0, v[25:26]
	s_add_u32 s0, s0, 8
	s_addc_u32 s1, s1, 0
	s_add_u32 s12, s12, 1
	s_addc_u32 s13, s13, 0
	v_or_b32_e32 v20, v6, v20
	s_cmp_lg_u32 s15, 0
	v_or_b32_e32 v21, v7, v21
	s_cbranch_scc1 .LBB2_325
	s_branch .LBB2_328
.LBB2_326:                              ;   in Loop: Header=BB2_274 Depth=1
	s_branch .LBB2_329
.LBB2_327:                              ;   in Loop: Header=BB2_274 Depth=1
	v_mov_b32_e32 v20, 0
	v_mov_b32_e32 v21, 0
.LBB2_328:                              ;   in Loop: Header=BB2_274 Depth=1
	s_cbranch_execnz .LBB2_330
.LBB2_329:                              ;   in Loop: Header=BB2_274 Depth=1
	global_load_dwordx2 v[20:21], v26, s[10:11]
.LBB2_330:                              ;   in Loop: Header=BB2_274 Depth=1
	v_readfirstlane_b32 s0, v32
	v_mov_b32_e32 v6, 0
	v_mov_b32_e32 v7, 0
	v_cmp_eq_u32_e64 s[0:1], s0, v32
	s_and_saveexec_b64 s[10:11], s[0:1]
	s_cbranch_execz .LBB2_336
; %bb.331:                              ;   in Loop: Header=BB2_274 Depth=1
	global_load_dwordx2 v[24:25], v26, s[2:3] offset:24 glc
	s_waitcnt vmcnt(0)
	buffer_wbinvl1_vol
	global_load_dwordx2 v[6:7], v26, s[2:3] offset:40
	global_load_dwordx2 v[22:23], v26, s[2:3]
	s_waitcnt vmcnt(1)
	v_and_b32_e32 v6, v6, v24
	v_and_b32_e32 v7, v7, v25
	v_mul_lo_u32 v7, v7, 24
	v_mul_hi_u32 v27, v6, 24
	v_mul_lo_u32 v6, v6, 24
	v_add_u32_e32 v7, v27, v7
	s_waitcnt vmcnt(0)
	v_add_co_u32_e32 v6, vcc, v22, v6
	v_addc_co_u32_e32 v7, vcc, v23, v7, vcc
	global_load_dwordx2 v[22:23], v[6:7], off glc
	s_waitcnt vmcnt(0)
	global_atomic_cmpswap_x2 v[6:7], v26, v[22:25], s[2:3] offset:24 glc
	s_waitcnt vmcnt(0)
	buffer_wbinvl1_vol
	v_cmp_ne_u64_e32 vcc, v[6:7], v[24:25]
	s_and_saveexec_b64 s[12:13], vcc
	s_cbranch_execz .LBB2_335
; %bb.332:                              ;   in Loop: Header=BB2_274 Depth=1
	s_mov_b64 s[14:15], 0
.LBB2_333:                              ;   Parent Loop BB2_274 Depth=1
                                        ; =>  This Inner Loop Header: Depth=2
	s_sleep 1
	global_load_dwordx2 v[22:23], v26, s[2:3] offset:40
	global_load_dwordx2 v[27:28], v26, s[2:3]
	v_mov_b32_e32 v25, v7
	v_mov_b32_e32 v24, v6
	s_waitcnt vmcnt(1)
	v_and_b32_e32 v6, v22, v24
	s_waitcnt vmcnt(0)
	v_mad_u64_u32 v[6:7], s[16:17], v6, 24, v[27:28]
	v_and_b32_e32 v22, v23, v25
	v_mad_u64_u32 v[22:23], s[16:17], v22, 24, v[7:8]
	v_mov_b32_e32 v7, v22
	global_load_dwordx2 v[22:23], v[6:7], off glc
	s_waitcnt vmcnt(0)
	global_atomic_cmpswap_x2 v[6:7], v26, v[22:25], s[2:3] offset:24 glc
	s_waitcnt vmcnt(0)
	buffer_wbinvl1_vol
	v_cmp_eq_u64_e32 vcc, v[6:7], v[24:25]
	s_or_b64 s[14:15], vcc, s[14:15]
	s_andn2_b64 exec, exec, s[14:15]
	s_cbranch_execnz .LBB2_333
; %bb.334:                              ;   in Loop: Header=BB2_274 Depth=1
	s_or_b64 exec, exec, s[14:15]
.LBB2_335:                              ;   in Loop: Header=BB2_274 Depth=1
	s_or_b64 exec, exec, s[12:13]
.LBB2_336:                              ;   in Loop: Header=BB2_274 Depth=1
	s_or_b64 exec, exec, s[10:11]
	global_load_dwordx2 v[27:28], v26, s[2:3] offset:40
	global_load_dwordx4 v[22:25], v26, s[2:3]
	v_readfirstlane_b32 s11, v7
	v_readfirstlane_b32 s10, v6
	s_mov_b64 s[12:13], exec
	s_waitcnt vmcnt(1)
	v_readfirstlane_b32 s14, v27
	v_readfirstlane_b32 s15, v28
	s_and_b64 s[14:15], s[14:15], s[10:11]
	s_mul_i32 s16, s15, 24
	s_mul_hi_u32 s17, s14, 24
	s_mul_i32 s18, s14, 24
	s_add_i32 s16, s17, s16
	v_mov_b32_e32 v6, s16
	s_waitcnt vmcnt(0)
	v_add_co_u32_e32 v27, vcc, s18, v22
	v_addc_co_u32_e32 v28, vcc, v23, v6, vcc
	s_and_saveexec_b64 s[16:17], s[0:1]
	s_cbranch_execz .LBB2_338
; %bb.337:                              ;   in Loop: Header=BB2_274 Depth=1
	v_mov_b32_e32 v6, s12
	v_mov_b32_e32 v7, s13
	global_store_dwordx4 v[27:28], v[6:9], off offset:8
.LBB2_338:                              ;   in Loop: Header=BB2_274 Depth=1
	s_or_b64 exec, exec, s[16:17]
	s_lshl_b64 s[12:13], s[14:15], 12
	v_mov_b32_e32 v6, s13
	v_add_co_u32_e32 v24, vcc, s12, v24
	v_addc_co_u32_e32 v30, vcc, v25, v6, vcc
	v_cmp_lt_u64_e64 vcc, s[6:7], 57
	s_lshl_b32 s12, s8, 2
	v_cndmask_b32_e32 v6, 0, v29, vcc
	s_add_i32 s12, s12, 28
	v_and_b32_e32 v2, 0xffffff1f, v2
	s_and_b32 s12, s12, 0x1e0
	v_or_b32_e32 v2, v2, v6
	v_or_b32_e32 v2, s12, v2
	v_readfirstlane_b32 s12, v24
	v_readfirstlane_b32 s13, v30
	s_nop 4
	global_store_dwordx4 v31, v[2:5], s[12:13]
	global_store_dwordx4 v31, v[10:13], s[12:13] offset:16
	global_store_dwordx4 v31, v[14:17], s[12:13] offset:32
	global_store_dwordx4 v31, v[18:21], s[12:13] offset:48
	s_and_saveexec_b64 s[12:13], s[0:1]
	s_cbranch_execz .LBB2_346
; %bb.339:                              ;   in Loop: Header=BB2_274 Depth=1
	global_load_dwordx2 v[12:13], v26, s[2:3] offset:32 glc
	global_load_dwordx2 v[2:3], v26, s[2:3] offset:40
	v_mov_b32_e32 v10, s10
	v_mov_b32_e32 v11, s11
	s_waitcnt vmcnt(0)
	v_readfirstlane_b32 s14, v2
	v_readfirstlane_b32 s15, v3
	s_and_b64 s[14:15], s[14:15], s[10:11]
	s_mul_i32 s15, s15, 24
	s_mul_hi_u32 s16, s14, 24
	s_mul_i32 s14, s14, 24
	s_add_i32 s15, s16, s15
	v_mov_b32_e32 v2, s15
	v_add_co_u32_e32 v6, vcc, s14, v22
	v_addc_co_u32_e32 v7, vcc, v23, v2, vcc
	global_store_dwordx2 v[6:7], v[12:13], off
	s_waitcnt vmcnt(0)
	global_atomic_cmpswap_x2 v[4:5], v26, v[10:13], s[2:3] offset:32 glc
	s_waitcnt vmcnt(0)
	v_cmp_ne_u64_e32 vcc, v[4:5], v[12:13]
	s_and_saveexec_b64 s[14:15], vcc
	s_cbranch_execz .LBB2_342
; %bb.340:                              ;   in Loop: Header=BB2_274 Depth=1
	s_mov_b64 s[16:17], 0
.LBB2_341:                              ;   Parent Loop BB2_274 Depth=1
                                        ; =>  This Inner Loop Header: Depth=2
	s_sleep 1
	global_store_dwordx2 v[6:7], v[4:5], off
	v_mov_b32_e32 v2, s10
	v_mov_b32_e32 v3, s11
	s_waitcnt vmcnt(0)
	global_atomic_cmpswap_x2 v[2:3], v26, v[2:5], s[2:3] offset:32 glc
	s_waitcnt vmcnt(0)
	v_cmp_eq_u64_e32 vcc, v[2:3], v[4:5]
	v_mov_b32_e32 v5, v3
	s_or_b64 s[16:17], vcc, s[16:17]
	v_mov_b32_e32 v4, v2
	s_andn2_b64 exec, exec, s[16:17]
	s_cbranch_execnz .LBB2_341
.LBB2_342:                              ;   in Loop: Header=BB2_274 Depth=1
	s_or_b64 exec, exec, s[14:15]
	global_load_dwordx2 v[2:3], v26, s[2:3] offset:16
	s_mov_b64 s[16:17], exec
	v_mbcnt_lo_u32_b32 v4, s16, 0
	v_mbcnt_hi_u32_b32 v4, s17, v4
	v_cmp_eq_u32_e32 vcc, 0, v4
	s_and_saveexec_b64 s[14:15], vcc
	s_cbranch_execz .LBB2_344
; %bb.343:                              ;   in Loop: Header=BB2_274 Depth=1
	s_bcnt1_i32_b64 s16, s[16:17]
	v_mov_b32_e32 v25, s16
	s_waitcnt vmcnt(0)
	global_atomic_add_x2 v[2:3], v[25:26], off offset:8
.LBB2_344:                              ;   in Loop: Header=BB2_274 Depth=1
	s_or_b64 exec, exec, s[14:15]
	s_waitcnt vmcnt(0)
	global_load_dwordx2 v[4:5], v[2:3], off offset:16
	s_waitcnt vmcnt(0)
	v_cmp_eq_u64_e32 vcc, 0, v[4:5]
	s_cbranch_vccnz .LBB2_346
; %bb.345:                              ;   in Loop: Header=BB2_274 Depth=1
	global_load_dword v25, v[2:3], off offset:24
	s_waitcnt vmcnt(0)
	v_readfirstlane_b32 s14, v25
	s_and_b32 m0, s14, 0xffffff
	global_store_dwordx2 v[4:5], v[25:26], off
	s_sendmsg sendmsg(MSG_INTERRUPT)
.LBB2_346:                              ;   in Loop: Header=BB2_274 Depth=1
	s_or_b64 exec, exec, s[12:13]
	v_add_co_u32_e32 v2, vcc, v24, v31
	v_addc_co_u32_e32 v3, vcc, 0, v30, vcc
	s_branch .LBB2_350
.LBB2_347:                              ;   in Loop: Header=BB2_350 Depth=2
	s_or_b64 exec, exec, s[12:13]
	v_readfirstlane_b32 s12, v4
	s_cmp_eq_u32 s12, 0
	s_cbranch_scc1 .LBB2_349
; %bb.348:                              ;   in Loop: Header=BB2_350 Depth=2
	s_sleep 1
	s_cbranch_execnz .LBB2_350
	s_branch .LBB2_352
.LBB2_349:                              ;   in Loop: Header=BB2_274 Depth=1
	s_branch .LBB2_352
.LBB2_350:                              ;   Parent Loop BB2_274 Depth=1
                                        ; =>  This Inner Loop Header: Depth=2
	v_mov_b32_e32 v4, 1
	s_and_saveexec_b64 s[12:13], s[0:1]
	s_cbranch_execz .LBB2_347
; %bb.351:                              ;   in Loop: Header=BB2_350 Depth=2
	global_load_dword v4, v[27:28], off offset:20 glc
	s_waitcnt vmcnt(0)
	buffer_wbinvl1_vol
	v_and_b32_e32 v4, 1, v4
	s_branch .LBB2_347
.LBB2_352:                              ;   in Loop: Header=BB2_274 Depth=1
	global_load_dwordx2 v[2:3], v[2:3], off
	s_and_saveexec_b64 s[12:13], s[0:1]
	s_cbranch_execz .LBB2_273
; %bb.353:                              ;   in Loop: Header=BB2_274 Depth=1
	global_load_dwordx2 v[4:5], v26, s[2:3] offset:40
	global_load_dwordx2 v[14:15], v26, s[2:3] offset:24 glc
	global_load_dwordx2 v[6:7], v26, s[2:3]
	s_waitcnt vmcnt(2)
	v_readfirstlane_b32 s14, v4
	v_readfirstlane_b32 s15, v5
	s_add_u32 s16, s14, 1
	s_addc_u32 s17, s15, 0
	s_add_u32 s0, s16, s10
	s_addc_u32 s1, s17, s11
	s_cmp_eq_u64 s[0:1], 0
	s_cselect_b32 s1, s17, s1
	s_cselect_b32 s0, s16, s0
	s_and_b64 s[10:11], s[0:1], s[14:15]
	s_mul_i32 s11, s11, 24
	s_mul_hi_u32 s14, s10, 24
	s_mul_i32 s10, s10, 24
	s_add_i32 s11, s14, s11
	v_mov_b32_e32 v4, s11
	s_waitcnt vmcnt(0)
	v_add_co_u32_e32 v10, vcc, s10, v6
	v_addc_co_u32_e32 v11, vcc, v7, v4, vcc
	v_mov_b32_e32 v12, s0
	global_store_dwordx2 v[10:11], v[14:15], off
	v_mov_b32_e32 v13, s1
	s_waitcnt vmcnt(0)
	global_atomic_cmpswap_x2 v[6:7], v26, v[12:15], s[2:3] offset:24 glc
	s_waitcnt vmcnt(0)
	v_cmp_ne_u64_e32 vcc, v[6:7], v[14:15]
	s_and_b64 exec, exec, vcc
	s_cbranch_execz .LBB2_273
; %bb.354:                              ;   in Loop: Header=BB2_274 Depth=1
	s_mov_b64 s[10:11], 0
.LBB2_355:                              ;   Parent Loop BB2_274 Depth=1
                                        ; =>  This Inner Loop Header: Depth=2
	s_sleep 1
	global_store_dwordx2 v[10:11], v[6:7], off
	v_mov_b32_e32 v4, s0
	v_mov_b32_e32 v5, s1
	s_waitcnt vmcnt(0)
	global_atomic_cmpswap_x2 v[4:5], v26, v[4:7], s[2:3] offset:24 glc
	s_waitcnt vmcnt(0)
	v_cmp_eq_u64_e32 vcc, v[4:5], v[6:7]
	v_mov_b32_e32 v7, v5
	s_or_b64 s[10:11], vcc, s[10:11]
	v_mov_b32_e32 v6, v4
	s_andn2_b64 exec, exec, s[10:11]
	s_cbranch_execnz .LBB2_355
	s_branch .LBB2_273
.LBB2_356:
	s_mov_b64 s[0:1], -1
                                        ; implicit-def: $vgpr2_vgpr3
	s_branch .LBB2_358
.LBB2_357:
	s_mov_b64 s[0:1], 0
.LBB2_358:
	s_and_b64 vcc, exec, s[0:1]
	s_cbranch_vccz .LBB2_385
; %bb.359:
	v_readfirstlane_b32 s0, v32
	v_mov_b32_e32 v8, 0
	v_mov_b32_e32 v9, 0
	v_cmp_eq_u32_e64 s[0:1], s0, v32
	s_and_saveexec_b64 s[4:5], s[0:1]
	s_cbranch_execz .LBB2_365
; %bb.360:
	s_waitcnt vmcnt(0)
	v_mov_b32_e32 v2, 0
	global_load_dwordx2 v[5:6], v2, s[2:3] offset:24 glc
	s_waitcnt vmcnt(0)
	buffer_wbinvl1_vol
	global_load_dwordx2 v[3:4], v2, s[2:3] offset:40
	global_load_dwordx2 v[7:8], v2, s[2:3]
	s_waitcnt vmcnt(1)
	v_and_b32_e32 v3, v3, v5
	v_and_b32_e32 v4, v4, v6
	v_mul_lo_u32 v4, v4, 24
	v_mul_hi_u32 v9, v3, 24
	v_mul_lo_u32 v3, v3, 24
	v_add_u32_e32 v4, v9, v4
	s_waitcnt vmcnt(0)
	v_add_co_u32_e32 v3, vcc, v7, v3
	v_addc_co_u32_e32 v4, vcc, v8, v4, vcc
	global_load_dwordx2 v[3:4], v[3:4], off glc
	s_waitcnt vmcnt(0)
	global_atomic_cmpswap_x2 v[8:9], v2, v[3:6], s[2:3] offset:24 glc
	s_waitcnt vmcnt(0)
	buffer_wbinvl1_vol
	v_cmp_ne_u64_e32 vcc, v[8:9], v[5:6]
	s_and_saveexec_b64 s[6:7], vcc
	s_cbranch_execz .LBB2_364
; %bb.361:
	s_mov_b64 s[8:9], 0
.LBB2_362:                              ; =>This Inner Loop Header: Depth=1
	s_sleep 1
	global_load_dwordx2 v[3:4], v2, s[2:3] offset:40
	global_load_dwordx2 v[10:11], v2, s[2:3]
	v_mov_b32_e32 v5, v8
	v_mov_b32_e32 v6, v9
	s_waitcnt vmcnt(1)
	v_and_b32_e32 v3, v3, v5
	s_waitcnt vmcnt(0)
	v_mad_u64_u32 v[7:8], s[10:11], v3, 24, v[10:11]
	v_and_b32_e32 v4, v4, v6
	v_mov_b32_e32 v3, v8
	v_mad_u64_u32 v[3:4], s[10:11], v4, 24, v[3:4]
	v_mov_b32_e32 v8, v3
	global_load_dwordx2 v[3:4], v[7:8], off glc
	s_waitcnt vmcnt(0)
	global_atomic_cmpswap_x2 v[8:9], v2, v[3:6], s[2:3] offset:24 glc
	s_waitcnt vmcnt(0)
	buffer_wbinvl1_vol
	v_cmp_eq_u64_e32 vcc, v[8:9], v[5:6]
	s_or_b64 s[8:9], vcc, s[8:9]
	s_andn2_b64 exec, exec, s[8:9]
	s_cbranch_execnz .LBB2_362
; %bb.363:
	s_or_b64 exec, exec, s[8:9]
.LBB2_364:
	s_or_b64 exec, exec, s[6:7]
.LBB2_365:
	s_or_b64 exec, exec, s[4:5]
	s_waitcnt vmcnt(0)
	v_mov_b32_e32 v2, 0
	global_load_dwordx2 v[10:11], v2, s[2:3] offset:40
	global_load_dwordx4 v[4:7], v2, s[2:3]
	v_readfirstlane_b32 s5, v9
	v_readfirstlane_b32 s4, v8
	s_mov_b64 s[6:7], exec
	s_waitcnt vmcnt(1)
	v_readfirstlane_b32 s8, v10
	v_readfirstlane_b32 s9, v11
	s_and_b64 s[8:9], s[8:9], s[4:5]
	s_mul_i32 s10, s9, 24
	s_mul_hi_u32 s11, s8, 24
	s_mul_i32 s12, s8, 24
	s_add_i32 s10, s11, s10
	v_mov_b32_e32 v3, s10
	s_waitcnt vmcnt(0)
	v_add_co_u32_e32 v8, vcc, s12, v4
	v_addc_co_u32_e32 v9, vcc, v5, v3, vcc
	s_and_saveexec_b64 s[10:11], s[0:1]
	s_cbranch_execz .LBB2_367
; %bb.366:
	v_mov_b32_e32 v11, s7
	v_mov_b32_e32 v10, s6
	;; [unrolled: 1-line block ×4, first 2 shown]
	global_store_dwordx4 v[8:9], v[10:13], off offset:8
.LBB2_367:
	s_or_b64 exec, exec, s[10:11]
	s_lshl_b64 s[6:7], s[8:9], 12
	v_mov_b32_e32 v3, s7
	v_add_co_u32_e32 v10, vcc, s6, v6
	v_addc_co_u32_e32 v11, vcc, v7, v3, vcc
	s_movk_i32 s6, 0xff1f
	v_and_or_b32 v0, v0, s6, 32
	s_mov_b32 s8, 0
	v_mov_b32_e32 v3, v2
	v_readfirstlane_b32 s6, v10
	v_readfirstlane_b32 s7, v11
	v_add_co_u32_e32 v6, vcc, v10, v31
	s_mov_b32 s9, s8
	s_mov_b32 s10, s8
	;; [unrolled: 1-line block ×3, first 2 shown]
	s_nop 0
	global_store_dwordx4 v31, v[0:3], s[6:7]
	v_addc_co_u32_e32 v7, vcc, 0, v11, vcc
	v_mov_b32_e32 v0, s8
	v_mov_b32_e32 v1, s9
	;; [unrolled: 1-line block ×4, first 2 shown]
	global_store_dwordx4 v31, v[0:3], s[6:7] offset:16
	global_store_dwordx4 v31, v[0:3], s[6:7] offset:32
	global_store_dwordx4 v31, v[0:3], s[6:7] offset:48
	s_and_saveexec_b64 s[6:7], s[0:1]
	s_cbranch_execz .LBB2_375
; %bb.368:
	v_mov_b32_e32 v10, 0
	global_load_dwordx2 v[13:14], v10, s[2:3] offset:32 glc
	global_load_dwordx2 v[0:1], v10, s[2:3] offset:40
	v_mov_b32_e32 v11, s4
	v_mov_b32_e32 v12, s5
	s_waitcnt vmcnt(0)
	v_readfirstlane_b32 s8, v0
	v_readfirstlane_b32 s9, v1
	s_and_b64 s[8:9], s[8:9], s[4:5]
	s_mul_i32 s9, s9, 24
	s_mul_hi_u32 s10, s8, 24
	s_mul_i32 s8, s8, 24
	s_add_i32 s9, s10, s9
	v_mov_b32_e32 v0, s9
	v_add_co_u32_e32 v4, vcc, s8, v4
	v_addc_co_u32_e32 v5, vcc, v5, v0, vcc
	global_store_dwordx2 v[4:5], v[13:14], off
	s_waitcnt vmcnt(0)
	global_atomic_cmpswap_x2 v[2:3], v10, v[11:14], s[2:3] offset:32 glc
	s_waitcnt vmcnt(0)
	v_cmp_ne_u64_e32 vcc, v[2:3], v[13:14]
	s_and_saveexec_b64 s[8:9], vcc
	s_cbranch_execz .LBB2_371
; %bb.369:
	s_mov_b64 s[10:11], 0
.LBB2_370:                              ; =>This Inner Loop Header: Depth=1
	s_sleep 1
	global_store_dwordx2 v[4:5], v[2:3], off
	v_mov_b32_e32 v0, s4
	v_mov_b32_e32 v1, s5
	s_waitcnt vmcnt(0)
	global_atomic_cmpswap_x2 v[0:1], v10, v[0:3], s[2:3] offset:32 glc
	s_waitcnt vmcnt(0)
	v_cmp_eq_u64_e32 vcc, v[0:1], v[2:3]
	v_mov_b32_e32 v3, v1
	s_or_b64 s[10:11], vcc, s[10:11]
	v_mov_b32_e32 v2, v0
	s_andn2_b64 exec, exec, s[10:11]
	s_cbranch_execnz .LBB2_370
.LBB2_371:
	s_or_b64 exec, exec, s[8:9]
	v_mov_b32_e32 v3, 0
	global_load_dwordx2 v[0:1], v3, s[2:3] offset:16
	s_mov_b64 s[8:9], exec
	v_mbcnt_lo_u32_b32 v2, s8, 0
	v_mbcnt_hi_u32_b32 v2, s9, v2
	v_cmp_eq_u32_e32 vcc, 0, v2
	s_and_saveexec_b64 s[10:11], vcc
	s_cbranch_execz .LBB2_373
; %bb.372:
	s_bcnt1_i32_b64 s8, s[8:9]
	v_mov_b32_e32 v2, s8
	s_waitcnt vmcnt(0)
	global_atomic_add_x2 v[0:1], v[2:3], off offset:8
.LBB2_373:
	s_or_b64 exec, exec, s[10:11]
	s_waitcnt vmcnt(0)
	global_load_dwordx2 v[2:3], v[0:1], off offset:16
	s_waitcnt vmcnt(0)
	v_cmp_eq_u64_e32 vcc, 0, v[2:3]
	s_cbranch_vccnz .LBB2_375
; %bb.374:
	global_load_dword v0, v[0:1], off offset:24
	v_mov_b32_e32 v1, 0
	s_waitcnt vmcnt(0)
	v_readfirstlane_b32 s8, v0
	s_and_b32 m0, s8, 0xffffff
	global_store_dwordx2 v[2:3], v[0:1], off
	s_sendmsg sendmsg(MSG_INTERRUPT)
.LBB2_375:
	s_or_b64 exec, exec, s[6:7]
	s_branch .LBB2_379
.LBB2_376:                              ;   in Loop: Header=BB2_379 Depth=1
	s_or_b64 exec, exec, s[6:7]
	v_readfirstlane_b32 s6, v0
	s_cmp_eq_u32 s6, 0
	s_cbranch_scc1 .LBB2_378
; %bb.377:                              ;   in Loop: Header=BB2_379 Depth=1
	s_sleep 1
	s_cbranch_execnz .LBB2_379
	s_branch .LBB2_381
.LBB2_378:
	s_branch .LBB2_381
.LBB2_379:                              ; =>This Inner Loop Header: Depth=1
	v_mov_b32_e32 v0, 1
	s_and_saveexec_b64 s[6:7], s[0:1]
	s_cbranch_execz .LBB2_376
; %bb.380:                              ;   in Loop: Header=BB2_379 Depth=1
	global_load_dword v0, v[8:9], off offset:20 glc
	s_waitcnt vmcnt(0)
	buffer_wbinvl1_vol
	v_and_b32_e32 v0, 1, v0
	s_branch .LBB2_376
.LBB2_381:
	global_load_dwordx2 v[2:3], v[6:7], off
	s_and_saveexec_b64 s[6:7], s[0:1]
	s_cbranch_execz .LBB2_384
; %bb.382:
	v_mov_b32_e32 v8, 0
	global_load_dwordx2 v[0:1], v8, s[2:3] offset:40
	global_load_dwordx2 v[11:12], v8, s[2:3] offset:24 glc
	global_load_dwordx2 v[4:5], v8, s[2:3]
	s_waitcnt vmcnt(2)
	v_readfirstlane_b32 s8, v0
	v_readfirstlane_b32 s9, v1
	s_add_u32 s10, s8, 1
	s_addc_u32 s11, s9, 0
	s_add_u32 s0, s10, s4
	s_addc_u32 s1, s11, s5
	s_cmp_eq_u64 s[0:1], 0
	s_cselect_b32 s1, s11, s1
	s_cselect_b32 s0, s10, s0
	s_and_b64 s[4:5], s[0:1], s[8:9]
	s_mul_i32 s5, s5, 24
	s_mul_hi_u32 s8, s4, 24
	s_mul_i32 s4, s4, 24
	s_add_i32 s5, s8, s5
	v_mov_b32_e32 v1, s5
	s_waitcnt vmcnt(0)
	v_add_co_u32_e32 v0, vcc, s4, v4
	v_addc_co_u32_e32 v1, vcc, v5, v1, vcc
	v_mov_b32_e32 v9, s0
	global_store_dwordx2 v[0:1], v[11:12], off
	v_mov_b32_e32 v10, s1
	s_waitcnt vmcnt(0)
	global_atomic_cmpswap_x2 v[6:7], v8, v[9:12], s[2:3] offset:24 glc
	s_mov_b64 s[4:5], 0
	s_waitcnt vmcnt(0)
	v_cmp_ne_u64_e32 vcc, v[6:7], v[11:12]
	s_and_b64 exec, exec, vcc
	s_cbranch_execz .LBB2_384
.LBB2_383:                              ; =>This Inner Loop Header: Depth=1
	s_sleep 1
	global_store_dwordx2 v[0:1], v[6:7], off
	v_mov_b32_e32 v4, s0
	v_mov_b32_e32 v5, s1
	s_waitcnt vmcnt(0)
	global_atomic_cmpswap_x2 v[4:5], v8, v[4:7], s[2:3] offset:24 glc
	s_waitcnt vmcnt(0)
	v_cmp_eq_u64_e32 vcc, v[4:5], v[6:7]
	v_mov_b32_e32 v7, v5
	s_or_b64 s[4:5], vcc, s[4:5]
	v_mov_b32_e32 v6, v4
	s_andn2_b64 exec, exec, s[4:5]
	s_cbranch_execnz .LBB2_383
.LBB2_384:
	s_or_b64 exec, exec, s[6:7]
.LBB2_385:
	v_readfirstlane_b32 s0, v32
	s_waitcnt vmcnt(0)
	v_mov_b32_e32 v0, 0
	v_mov_b32_e32 v1, 0
	v_cmp_eq_u32_e64 s[0:1], s0, v32
	s_and_saveexec_b64 s[4:5], s[0:1]
	s_cbranch_execz .LBB2_391
; %bb.386:
	v_mov_b32_e32 v4, 0
	global_load_dwordx2 v[7:8], v4, s[2:3] offset:24 glc
	s_waitcnt vmcnt(0)
	buffer_wbinvl1_vol
	global_load_dwordx2 v[0:1], v4, s[2:3] offset:40
	global_load_dwordx2 v[5:6], v4, s[2:3]
	s_waitcnt vmcnt(1)
	v_and_b32_e32 v0, v0, v7
	v_and_b32_e32 v1, v1, v8
	v_mul_lo_u32 v1, v1, 24
	v_mul_hi_u32 v9, v0, 24
	v_mul_lo_u32 v0, v0, 24
	v_add_u32_e32 v1, v9, v1
	s_waitcnt vmcnt(0)
	v_add_co_u32_e32 v0, vcc, v5, v0
	v_addc_co_u32_e32 v1, vcc, v6, v1, vcc
	global_load_dwordx2 v[5:6], v[0:1], off glc
	s_waitcnt vmcnt(0)
	global_atomic_cmpswap_x2 v[0:1], v4, v[5:8], s[2:3] offset:24 glc
	s_waitcnt vmcnt(0)
	buffer_wbinvl1_vol
	v_cmp_ne_u64_e32 vcc, v[0:1], v[7:8]
	s_and_saveexec_b64 s[6:7], vcc
	s_cbranch_execz .LBB2_390
; %bb.387:
	s_mov_b64 s[8:9], 0
.LBB2_388:                              ; =>This Inner Loop Header: Depth=1
	s_sleep 1
	global_load_dwordx2 v[5:6], v4, s[2:3] offset:40
	global_load_dwordx2 v[9:10], v4, s[2:3]
	v_mov_b32_e32 v8, v1
	v_mov_b32_e32 v7, v0
	s_waitcnt vmcnt(1)
	v_and_b32_e32 v0, v5, v7
	s_waitcnt vmcnt(0)
	v_mad_u64_u32 v[0:1], s[10:11], v0, 24, v[9:10]
	v_and_b32_e32 v5, v6, v8
	v_mad_u64_u32 v[5:6], s[10:11], v5, 24, v[1:2]
	v_mov_b32_e32 v1, v5
	global_load_dwordx2 v[5:6], v[0:1], off glc
	s_waitcnt vmcnt(0)
	global_atomic_cmpswap_x2 v[0:1], v4, v[5:8], s[2:3] offset:24 glc
	s_waitcnt vmcnt(0)
	buffer_wbinvl1_vol
	v_cmp_eq_u64_e32 vcc, v[0:1], v[7:8]
	s_or_b64 s[8:9], vcc, s[8:9]
	s_andn2_b64 exec, exec, s[8:9]
	s_cbranch_execnz .LBB2_388
; %bb.389:
	s_or_b64 exec, exec, s[8:9]
.LBB2_390:
	s_or_b64 exec, exec, s[6:7]
.LBB2_391:
	s_or_b64 exec, exec, s[4:5]
	v_mov_b32_e32 v5, 0
	global_load_dwordx2 v[10:11], v5, s[2:3] offset:40
	global_load_dwordx4 v[6:9], v5, s[2:3]
	v_readfirstlane_b32 s5, v1
	v_readfirstlane_b32 s4, v0
	s_mov_b64 s[6:7], exec
	s_waitcnt vmcnt(1)
	v_readfirstlane_b32 s8, v10
	v_readfirstlane_b32 s9, v11
	s_and_b64 s[8:9], s[8:9], s[4:5]
	s_mul_i32 s10, s9, 24
	s_mul_hi_u32 s11, s8, 24
	s_mul_i32 s12, s8, 24
	s_add_i32 s10, s11, s10
	v_mov_b32_e32 v0, s10
	s_waitcnt vmcnt(0)
	v_add_co_u32_e32 v10, vcc, s12, v6
	v_addc_co_u32_e32 v11, vcc, v7, v0, vcc
	s_and_saveexec_b64 s[10:11], s[0:1]
	s_cbranch_execz .LBB2_393
; %bb.392:
	v_mov_b32_e32 v13, s7
	v_mov_b32_e32 v12, s6
	v_mov_b32_e32 v14, 2
	v_mov_b32_e32 v15, 1
	global_store_dwordx4 v[10:11], v[12:15], off offset:8
.LBB2_393:
	s_or_b64 exec, exec, s[10:11]
	s_lshl_b64 s[6:7], s[8:9], 12
	v_mov_b32_e32 v0, s7
	v_add_co_u32_e32 v1, vcc, s6, v8
	v_addc_co_u32_e32 v0, vcc, v9, v0, vcc
	s_movk_i32 s6, 0xff1d
	v_and_or_b32 v2, v2, s6, 34
	s_mov_b32 s8, 0
	v_mov_b32_e32 v4, 0x48
	v_readfirstlane_b32 s6, v1
	v_readfirstlane_b32 s7, v0
	s_mov_b32 s9, s8
	s_mov_b32 s10, s8
	;; [unrolled: 1-line block ×3, first 2 shown]
	s_nop 1
	global_store_dwordx4 v31, v[2:5], s[6:7]
	v_mov_b32_e32 v0, s8
	v_mov_b32_e32 v1, s9
	;; [unrolled: 1-line block ×4, first 2 shown]
	global_store_dwordx4 v31, v[0:3], s[6:7] offset:16
	global_store_dwordx4 v31, v[0:3], s[6:7] offset:32
	global_store_dwordx4 v31, v[0:3], s[6:7] offset:48
	s_and_saveexec_b64 s[6:7], s[0:1]
	s_cbranch_execz .LBB2_401
; %bb.394:
	v_mov_b32_e32 v8, 0
	global_load_dwordx2 v[14:15], v8, s[2:3] offset:32 glc
	global_load_dwordx2 v[0:1], v8, s[2:3] offset:40
	v_mov_b32_e32 v12, s4
	v_mov_b32_e32 v13, s5
	s_waitcnt vmcnt(0)
	v_readfirstlane_b32 s8, v0
	v_readfirstlane_b32 s9, v1
	s_and_b64 s[8:9], s[8:9], s[4:5]
	s_mul_i32 s9, s9, 24
	s_mul_hi_u32 s10, s8, 24
	s_mul_i32 s8, s8, 24
	s_add_i32 s9, s10, s9
	v_mov_b32_e32 v0, s9
	v_add_co_u32_e32 v4, vcc, s8, v6
	v_addc_co_u32_e32 v5, vcc, v7, v0, vcc
	global_store_dwordx2 v[4:5], v[14:15], off
	s_waitcnt vmcnt(0)
	global_atomic_cmpswap_x2 v[2:3], v8, v[12:15], s[2:3] offset:32 glc
	s_waitcnt vmcnt(0)
	v_cmp_ne_u64_e32 vcc, v[2:3], v[14:15]
	s_and_saveexec_b64 s[8:9], vcc
	s_cbranch_execz .LBB2_397
; %bb.395:
	s_mov_b64 s[10:11], 0
.LBB2_396:                              ; =>This Inner Loop Header: Depth=1
	s_sleep 1
	global_store_dwordx2 v[4:5], v[2:3], off
	v_mov_b32_e32 v0, s4
	v_mov_b32_e32 v1, s5
	s_waitcnt vmcnt(0)
	global_atomic_cmpswap_x2 v[0:1], v8, v[0:3], s[2:3] offset:32 glc
	s_waitcnt vmcnt(0)
	v_cmp_eq_u64_e32 vcc, v[0:1], v[2:3]
	v_mov_b32_e32 v3, v1
	s_or_b64 s[10:11], vcc, s[10:11]
	v_mov_b32_e32 v2, v0
	s_andn2_b64 exec, exec, s[10:11]
	s_cbranch_execnz .LBB2_396
.LBB2_397:
	s_or_b64 exec, exec, s[8:9]
	v_mov_b32_e32 v3, 0
	global_load_dwordx2 v[0:1], v3, s[2:3] offset:16
	s_mov_b64 s[8:9], exec
	v_mbcnt_lo_u32_b32 v2, s8, 0
	v_mbcnt_hi_u32_b32 v2, s9, v2
	v_cmp_eq_u32_e32 vcc, 0, v2
	s_and_saveexec_b64 s[10:11], vcc
	s_cbranch_execz .LBB2_399
; %bb.398:
	s_bcnt1_i32_b64 s8, s[8:9]
	v_mov_b32_e32 v2, s8
	s_waitcnt vmcnt(0)
	global_atomic_add_x2 v[0:1], v[2:3], off offset:8
.LBB2_399:
	s_or_b64 exec, exec, s[10:11]
	s_waitcnt vmcnt(0)
	global_load_dwordx2 v[2:3], v[0:1], off offset:16
	s_waitcnt vmcnt(0)
	v_cmp_eq_u64_e32 vcc, 0, v[2:3]
	s_cbranch_vccnz .LBB2_401
; %bb.400:
	global_load_dword v0, v[0:1], off offset:24
	v_mov_b32_e32 v1, 0
	s_waitcnt vmcnt(0)
	v_readfirstlane_b32 s8, v0
	s_and_b32 m0, s8, 0xffffff
	global_store_dwordx2 v[2:3], v[0:1], off
	s_sendmsg sendmsg(MSG_INTERRUPT)
.LBB2_401:
	s_or_b64 exec, exec, s[6:7]
	s_branch .LBB2_405
.LBB2_402:                              ;   in Loop: Header=BB2_405 Depth=1
	s_or_b64 exec, exec, s[6:7]
	v_readfirstlane_b32 s6, v0
	s_cmp_eq_u32 s6, 0
	s_cbranch_scc1 .LBB2_404
; %bb.403:                              ;   in Loop: Header=BB2_405 Depth=1
	s_sleep 1
	s_cbranch_execnz .LBB2_405
	s_branch .LBB2_407
.LBB2_404:
	s_branch .LBB2_407
.LBB2_405:                              ; =>This Inner Loop Header: Depth=1
	v_mov_b32_e32 v0, 1
	s_and_saveexec_b64 s[6:7], s[0:1]
	s_cbranch_execz .LBB2_402
; %bb.406:                              ;   in Loop: Header=BB2_405 Depth=1
	global_load_dword v0, v[10:11], off offset:20 glc
	s_waitcnt vmcnt(0)
	buffer_wbinvl1_vol
	v_and_b32_e32 v0, 1, v0
	s_branch .LBB2_402
.LBB2_407:
	s_and_saveexec_b64 s[6:7], s[0:1]
	s_cbranch_execz .LBB2_410
; %bb.408:
	v_mov_b32_e32 v6, 0
	global_load_dwordx2 v[0:1], v6, s[2:3] offset:40
	global_load_dwordx2 v[9:10], v6, s[2:3] offset:24 glc
	global_load_dwordx2 v[2:3], v6, s[2:3]
	s_waitcnt vmcnt(2)
	v_readfirstlane_b32 s8, v0
	v_readfirstlane_b32 s9, v1
	s_add_u32 s10, s8, 1
	s_addc_u32 s11, s9, 0
	s_add_u32 s0, s10, s4
	s_addc_u32 s1, s11, s5
	s_cmp_eq_u64 s[0:1], 0
	s_cselect_b32 s1, s11, s1
	s_cselect_b32 s0, s10, s0
	s_and_b64 s[4:5], s[0:1], s[8:9]
	s_mul_i32 s5, s5, 24
	s_mul_hi_u32 s8, s4, 24
	s_mul_i32 s4, s4, 24
	s_add_i32 s5, s8, s5
	v_mov_b32_e32 v0, s5
	s_waitcnt vmcnt(0)
	v_add_co_u32_e32 v4, vcc, s4, v2
	v_addc_co_u32_e32 v5, vcc, v3, v0, vcc
	v_mov_b32_e32 v7, s0
	global_store_dwordx2 v[4:5], v[9:10], off
	v_mov_b32_e32 v8, s1
	s_waitcnt vmcnt(0)
	global_atomic_cmpswap_x2 v[2:3], v6, v[7:10], s[2:3] offset:24 glc
	s_mov_b64 s[4:5], 0
	s_waitcnt vmcnt(0)
	v_cmp_ne_u64_e32 vcc, v[2:3], v[9:10]
	s_and_b64 exec, exec, vcc
	s_cbranch_execz .LBB2_410
.LBB2_409:                              ; =>This Inner Loop Header: Depth=1
	s_sleep 1
	global_store_dwordx2 v[4:5], v[2:3], off
	v_mov_b32_e32 v0, s0
	v_mov_b32_e32 v1, s1
	s_waitcnt vmcnt(0)
	global_atomic_cmpswap_x2 v[0:1], v6, v[0:3], s[2:3] offset:24 glc
	s_waitcnt vmcnt(0)
	v_cmp_eq_u64_e32 vcc, v[0:1], v[2:3]
	v_mov_b32_e32 v3, v1
	s_or_b64 s[4:5], vcc, s[4:5]
	v_mov_b32_e32 v2, v0
	s_andn2_b64 exec, exec, s[4:5]
	s_cbranch_execnz .LBB2_409
.LBB2_410:
	s_or_b64 exec, exec, s[6:7]
	s_trap 2
	; divergent unreachable
	s_endpgm
	.section	.rodata,"a",@progbits
	.p2align	6, 0x0
	.amdhsa_kernel _ZN9rocsparseL39csr2csr_compress_fill_warp_start_deviceILj256ELj64ELj2EfEEviPKT2_PjS1_
		.amdhsa_group_segment_fixed_size 0
		.amdhsa_private_segment_fixed_size 0
		.amdhsa_kernarg_size 288
		.amdhsa_user_sgpr_count 6
		.amdhsa_user_sgpr_private_segment_buffer 1
		.amdhsa_user_sgpr_dispatch_ptr 0
		.amdhsa_user_sgpr_queue_ptr 0
		.amdhsa_user_sgpr_kernarg_segment_ptr 1
		.amdhsa_user_sgpr_dispatch_id 0
		.amdhsa_user_sgpr_flat_scratch_init 0
		.amdhsa_user_sgpr_private_segment_size 0
		.amdhsa_uses_dynamic_stack 0
		.amdhsa_system_sgpr_private_segment_wavefront_offset 0
		.amdhsa_system_sgpr_workgroup_id_x 1
		.amdhsa_system_sgpr_workgroup_id_y 0
		.amdhsa_system_sgpr_workgroup_id_z 0
		.amdhsa_system_sgpr_workgroup_info 0
		.amdhsa_system_vgpr_workitem_id 0
		.amdhsa_next_free_vgpr 34
		.amdhsa_next_free_sgpr 19
		.amdhsa_reserve_vcc 1
		.amdhsa_reserve_flat_scratch 0
		.amdhsa_float_round_mode_32 0
		.amdhsa_float_round_mode_16_64 0
		.amdhsa_float_denorm_mode_32 3
		.amdhsa_float_denorm_mode_16_64 3
		.amdhsa_dx10_clamp 1
		.amdhsa_ieee_mode 1
		.amdhsa_fp16_overflow 0
		.amdhsa_exception_fp_ieee_invalid_op 0
		.amdhsa_exception_fp_denorm_src 0
		.amdhsa_exception_fp_ieee_div_zero 0
		.amdhsa_exception_fp_ieee_overflow 0
		.amdhsa_exception_fp_ieee_underflow 0
		.amdhsa_exception_fp_ieee_inexact 0
		.amdhsa_exception_int_div_zero 0
	.end_amdhsa_kernel
	.section	.text._ZN9rocsparseL39csr2csr_compress_fill_warp_start_deviceILj256ELj64ELj2EfEEviPKT2_PjS1_,"axG",@progbits,_ZN9rocsparseL39csr2csr_compress_fill_warp_start_deviceILj256ELj64ELj2EfEEviPKT2_PjS1_,comdat
.Lfunc_end2:
	.size	_ZN9rocsparseL39csr2csr_compress_fill_warp_start_deviceILj256ELj64ELj2EfEEviPKT2_PjS1_, .Lfunc_end2-_ZN9rocsparseL39csr2csr_compress_fill_warp_start_deviceILj256ELj64ELj2EfEEviPKT2_PjS1_
                                        ; -- End function
	.set _ZN9rocsparseL39csr2csr_compress_fill_warp_start_deviceILj256ELj64ELj2EfEEviPKT2_PjS1_.num_vgpr, 34
	.set _ZN9rocsparseL39csr2csr_compress_fill_warp_start_deviceILj256ELj64ELj2EfEEviPKT2_PjS1_.num_agpr, 0
	.set _ZN9rocsparseL39csr2csr_compress_fill_warp_start_deviceILj256ELj64ELj2EfEEviPKT2_PjS1_.numbered_sgpr, 19
	.set _ZN9rocsparseL39csr2csr_compress_fill_warp_start_deviceILj256ELj64ELj2EfEEviPKT2_PjS1_.num_named_barrier, 0
	.set _ZN9rocsparseL39csr2csr_compress_fill_warp_start_deviceILj256ELj64ELj2EfEEviPKT2_PjS1_.private_seg_size, 0
	.set _ZN9rocsparseL39csr2csr_compress_fill_warp_start_deviceILj256ELj64ELj2EfEEviPKT2_PjS1_.uses_vcc, 1
	.set _ZN9rocsparseL39csr2csr_compress_fill_warp_start_deviceILj256ELj64ELj2EfEEviPKT2_PjS1_.uses_flat_scratch, 0
	.set _ZN9rocsparseL39csr2csr_compress_fill_warp_start_deviceILj256ELj64ELj2EfEEviPKT2_PjS1_.has_dyn_sized_stack, 0
	.set _ZN9rocsparseL39csr2csr_compress_fill_warp_start_deviceILj256ELj64ELj2EfEEviPKT2_PjS1_.has_recursion, 0
	.set _ZN9rocsparseL39csr2csr_compress_fill_warp_start_deviceILj256ELj64ELj2EfEEviPKT2_PjS1_.has_indirect_call, 0
	.section	.AMDGPU.csdata,"",@progbits
; Kernel info:
; codeLenInByte = 13368
; TotalNumSgprs: 23
; NumVgprs: 34
; ScratchSize: 0
; MemoryBound: 0
; FloatMode: 240
; IeeeMode: 1
; LDSByteSize: 0 bytes/workgroup (compile time only)
; SGPRBlocks: 2
; VGPRBlocks: 8
; NumSGPRsForWavesPerEU: 23
; NumVGPRsForWavesPerEU: 34
; Occupancy: 7
; WaveLimiterHint : 1
; COMPUTE_PGM_RSRC2:SCRATCH_EN: 0
; COMPUTE_PGM_RSRC2:USER_SGPR: 6
; COMPUTE_PGM_RSRC2:TRAP_HANDLER: 0
; COMPUTE_PGM_RSRC2:TGID_X_EN: 1
; COMPUTE_PGM_RSRC2:TGID_Y_EN: 0
; COMPUTE_PGM_RSRC2:TGID_Z_EN: 0
; COMPUTE_PGM_RSRC2:TIDIG_COMP_CNT: 0
	.section	.text._ZN9rocsparseL38csr2csr_compress_use_warp_start_deviceILj256ELj32ELj2EfEEvi21rocsparse_index_base_PKT2_PKiS1_PS2_PiPKjS2_,"axG",@progbits,_ZN9rocsparseL38csr2csr_compress_use_warp_start_deviceILj256ELj32ELj2EfEEvi21rocsparse_index_base_PKT2_PKiS1_PS2_PiPKjS2_,comdat
	.globl	_ZN9rocsparseL38csr2csr_compress_use_warp_start_deviceILj256ELj32ELj2EfEEvi21rocsparse_index_base_PKT2_PKiS1_PS2_PiPKjS2_ ; -- Begin function _ZN9rocsparseL38csr2csr_compress_use_warp_start_deviceILj256ELj32ELj2EfEEvi21rocsparse_index_base_PKT2_PKiS1_PS2_PiPKjS2_
	.p2align	8
	.type	_ZN9rocsparseL38csr2csr_compress_use_warp_start_deviceILj256ELj32ELj2EfEEvi21rocsparse_index_base_PKT2_PKiS1_PS2_PiPKjS2_,@function
_ZN9rocsparseL38csr2csr_compress_use_warp_start_deviceILj256ELj32ELj2EfEEvi21rocsparse_index_base_PKT2_PKiS1_PS2_PiPKjS2_: ; @_ZN9rocsparseL38csr2csr_compress_use_warp_start_deviceILj256ELj32ELj2EfEEvi21rocsparse_index_base_PKT2_PKiS1_PS2_PiPKjS2_
; %bb.0:
	s_load_dwordx4 s[12:15], s[4:5], 0x0
	s_load_dwordx2 s[16:17], s[4:5], 0x10
	s_load_dword s0, s[4:5], 0x18
	s_load_dwordx4 s[8:11], s[4:5], 0x20
	s_load_dwordx2 s[18:19], s[4:5], 0x30
	s_load_dword s27, s[4:5], 0x38
	v_lshl_or_b32 v2, s6, 9, v0
	v_lshrrev_b32_e32 v1, 5, v0
	v_not_b32_e32 v0, v0
	v_lshrrev_b32_e64 v7, v0, -1
	v_lshl_or_b32 v0, s6, 4, v1
	s_waitcnt lgkmcnt(0)
	s_sub_i32 s26, s0, s13
	v_cmp_le_i32_e32 vcc, s12, v2
	v_cmp_gt_i32_e64 s[0:1], s12, v2
	s_mov_b64 s[2:3], 0
	s_and_saveexec_b64 s[6:7], s[0:1]
	s_cbranch_execnz .LBB3_4
; %bb.1:
	s_or_b64 exec, exec, s[6:7]
	s_and_saveexec_b64 s[6:7], vcc
	s_cbranch_execnz .LBB3_9
.LBB3_2:
	s_or_b64 exec, exec, s[6:7]
	s_and_saveexec_b64 s[0:1], s[2:3]
	s_xor_b64 s[0:1], exec, s[0:1]
	s_cbranch_execnz .LBB3_16
.LBB3_3:
	s_endpgm
.LBB3_4:
	v_ashrrev_i32_e32 v3, 31, v2
	v_lshlrev_b64 v[3:4], 2, v[2:3]
	v_mov_b32_e32 v1, s15
	v_add_co_u32_e64 v5, s[0:1], s14, v3
	v_addc_co_u32_e64 v6, s[0:1], v1, v4, s[0:1]
	global_load_dword v8, v[5:6], off glc slc
	s_mov_b32 s2, 0x800000
	s_mov_b64 s[20:21], -1
	s_mov_b64 s[22:23], 0
	s_waitcnt vmcnt(0)
	v_cmp_gt_f32_e64 s[0:1], 0, v8
	v_cndmask_b32_e64 v1, v8, -v8, s[0:1]
	v_cmp_lt_f32_e64 s[0:1], s27, v1
	v_cmp_lt_f32_e64 s[2:3], s2, v1
	s_and_b64 s[24:25], s[0:1], s[2:3]
	v_cndmask_b32_e64 v1, 0, 1, s[24:25]
	v_cmp_ne_u32_e64 s[0:1], 0, v1
	s_and_saveexec_b64 s[2:3], s[24:25]
	s_cbranch_execz .LBB3_8
; %bb.5:
	v_mov_b32_e32 v6, 0
	v_and_b32_e32 v5, s0, v7
	v_cmp_ne_u64_e64 s[0:1], 0, v[5:6]
	s_mov_b64 s[20:21], 0
	s_mov_b64 s[24:25], -1
	s_and_saveexec_b64 s[22:23], s[0:1]
	s_cbranch_execz .LBB3_7
; %bb.6:
	v_mov_b32_e32 v1, v6
	v_lshlrev_b64 v[9:10], 2, v[0:1]
	v_mov_b32_e32 v1, s19
	v_add_co_u32_e64 v9, s[0:1], s18, v9
	v_addc_co_u32_e64 v10, s[0:1], v1, v10, s[0:1]
	v_mov_b32_e32 v1, s17
	v_add_co_u32_e64 v3, s[0:1], s16, v3
	v_addc_co_u32_e64 v4, s[0:1], v1, v4, s[0:1]
	global_load_dword v1, v[3:4], off
	global_load_dword v11, v[9:10], off
	v_bcnt_u32_b32 v3, v5, 0
	v_mov_b32_e32 v9, s9
	s_mov_b64 s[20:21], exec
	v_mov_b32_e32 v10, s11
	s_xor_b64 s[24:25], exec, -1
	s_waitcnt vmcnt(1)
	v_add_u32_e32 v1, s26, v1
	s_waitcnt vmcnt(0)
	v_add3_u32 v5, v3, v11, -1
	v_lshlrev_b64 v[3:4], 2, v[5:6]
	v_add_co_u32_e64 v5, s[0:1], s8, v3
	v_addc_co_u32_e64 v6, s[0:1], v9, v4, s[0:1]
	v_add_co_u32_e64 v3, s[0:1], s10, v3
	v_addc_co_u32_e64 v4, s[0:1], v10, v4, s[0:1]
	global_store_dword v[5:6], v8, off
	global_store_dword v[3:4], v1, off
.LBB3_7:
	s_or_b64 exec, exec, s[22:23]
	s_and_b64 s[22:23], s[24:25], exec
	s_orn2_b64 s[20:21], s[20:21], exec
.LBB3_8:
	s_or_b64 exec, exec, s[2:3]
	s_andn2_b64 s[0:1], vcc, exec
	s_and_b64 s[20:21], s[20:21], exec
	s_and_b64 s[2:3], s[22:23], exec
	s_or_b64 vcc, s[0:1], s[20:21]
	s_or_b64 exec, exec, s[6:7]
	s_and_saveexec_b64 s[6:7], vcc
	s_cbranch_execz .LBB3_2
.LBB3_9:
	v_add_u32_e32 v1, 0x100, v2
	v_cmp_gt_i32_e32 vcc, s12, v1
	s_mov_b64 s[0:1], s[2:3]
	s_and_saveexec_b64 s[12:13], vcc
	s_cbranch_execz .LBB3_15
; %bb.10:
	v_ashrrev_i32_e32 v3, 31, v2
	v_lshlrev_b64 v[1:2], 2, v[2:3]
	v_mov_b32_e32 v4, s15
	v_add_co_u32_e32 v3, vcc, s14, v1
	v_addc_co_u32_e32 v4, vcc, v4, v2, vcc
	global_load_dword v5, v[3:4], off offset:1024 glc slc
	s_mov_b32 s0, 0x800000
	s_mov_b64 s[14:15], s[2:3]
	s_waitcnt vmcnt(0)
	v_cmp_gt_f32_e32 vcc, 0, v5
	v_cndmask_b32_e64 v3, v5, -v5, vcc
	v_cmp_lt_f32_e32 vcc, s27, v3
	v_cmp_lt_f32_e64 s[0:1], s0, v3
	s_and_b64 s[20:21], vcc, s[0:1]
	v_cndmask_b32_e64 v3, 0, 1, s[20:21]
	v_cmp_ne_u32_e32 vcc, 0, v3
	s_and_saveexec_b64 s[0:1], s[20:21]
	s_cbranch_execz .LBB3_14
; %bb.11:
	v_mov_b32_e32 v4, 0
	v_and_b32_e32 v3, vcc_lo, v7
	v_cmp_ne_u64_e32 vcc, 0, v[3:4]
	s_mov_b64 s[20:21], -1
	s_and_saveexec_b64 s[14:15], vcc
	s_xor_b64 s[14:15], exec, s[14:15]
	s_cbranch_execz .LBB3_13
; %bb.12:
	v_bcnt_u32_b32 v8, v3, 0
	v_add_u32_e32 v3, 8, v0
	v_lshlrev_b64 v[6:7], 2, v[3:4]
	v_mov_b32_e32 v0, s19
	v_add_co_u32_e32 v6, vcc, s18, v6
	v_addc_co_u32_e32 v7, vcc, v0, v7, vcc
	v_mov_b32_e32 v3, s17
	v_add_co_u32_e32 v0, vcc, s16, v1
	v_addc_co_u32_e32 v1, vcc, v3, v2, vcc
	global_load_dword v2, v[0:1], off offset:1024
	global_load_dword v3, v[6:7], off
	v_mov_b32_e32 v6, s9
	v_mov_b32_e32 v7, s11
	s_xor_b64 s[20:21], exec, -1
	s_waitcnt vmcnt(1)
	v_add_u32_e32 v9, s26, v2
	s_waitcnt vmcnt(0)
	v_add3_u32 v3, v8, v3, -1
	v_lshlrev_b64 v[0:1], 2, v[3:4]
	v_add_co_u32_e32 v2, vcc, s8, v0
	v_addc_co_u32_e32 v3, vcc, v6, v1, vcc
	v_add_co_u32_e32 v0, vcc, s10, v0
	v_addc_co_u32_e32 v1, vcc, v7, v1, vcc
	global_store_dword v[2:3], v5, off
	global_store_dword v[0:1], v9, off
.LBB3_13:
	s_or_b64 exec, exec, s[14:15]
	s_andn2_b64 s[8:9], s[2:3], exec
	s_and_b64 s[10:11], s[20:21], exec
	s_or_b64 s[14:15], s[8:9], s[10:11]
.LBB3_14:
	s_or_b64 exec, exec, s[0:1]
	s_andn2_b64 s[0:1], s[2:3], exec
	s_and_b64 s[8:9], s[14:15], exec
	s_or_b64 s[0:1], s[0:1], s[8:9]
.LBB3_15:
	s_or_b64 exec, exec, s[12:13]
	s_andn2_b64 s[2:3], s[2:3], exec
	s_and_b64 s[0:1], s[0:1], exec
	s_or_b64 s[2:3], s[2:3], s[0:1]
	s_or_b64 exec, exec, s[6:7]
	s_and_saveexec_b64 s[0:1], s[2:3]
	s_xor_b64 s[0:1], exec, s[0:1]
	s_cbranch_execz .LBB3_3
.LBB3_16:
	s_load_dwordx2 s[2:3], s[4:5], 0x90
	v_mbcnt_lo_u32_b32 v0, -1, 0
	v_mbcnt_hi_u32_b32 v32, -1, v0
	v_readfirstlane_b32 s0, v32
	v_mov_b32_e32 v5, 0
	v_mov_b32_e32 v6, 0
	v_cmp_eq_u32_e64 s[0:1], s0, v32
	s_and_saveexec_b64 s[4:5], s[0:1]
	s_cbranch_execz .LBB3_22
; %bb.17:
	v_mov_b32_e32 v0, 0
	s_waitcnt lgkmcnt(0)
	global_load_dwordx2 v[3:4], v0, s[2:3] offset:24 glc
	s_waitcnt vmcnt(0)
	buffer_wbinvl1_vol
	global_load_dwordx2 v[1:2], v0, s[2:3] offset:40
	global_load_dwordx2 v[5:6], v0, s[2:3]
	s_waitcnt vmcnt(1)
	v_and_b32_e32 v1, v1, v3
	v_and_b32_e32 v2, v2, v4
	v_mul_lo_u32 v2, v2, 24
	v_mul_hi_u32 v7, v1, 24
	v_mul_lo_u32 v1, v1, 24
	v_add_u32_e32 v2, v7, v2
	s_waitcnt vmcnt(0)
	v_add_co_u32_e32 v1, vcc, v5, v1
	v_addc_co_u32_e32 v2, vcc, v6, v2, vcc
	global_load_dwordx2 v[1:2], v[1:2], off glc
	s_waitcnt vmcnt(0)
	global_atomic_cmpswap_x2 v[5:6], v0, v[1:4], s[2:3] offset:24 glc
	s_waitcnt vmcnt(0)
	buffer_wbinvl1_vol
	v_cmp_ne_u64_e32 vcc, v[5:6], v[3:4]
	s_and_saveexec_b64 s[6:7], vcc
	s_cbranch_execz .LBB3_21
; %bb.18:
	s_mov_b64 s[8:9], 0
.LBB3_19:                               ; =>This Inner Loop Header: Depth=1
	s_sleep 1
	global_load_dwordx2 v[1:2], v0, s[2:3] offset:40
	global_load_dwordx2 v[7:8], v0, s[2:3]
	v_mov_b32_e32 v3, v5
	v_mov_b32_e32 v4, v6
	s_waitcnt vmcnt(1)
	v_and_b32_e32 v1, v1, v3
	s_waitcnt vmcnt(0)
	v_mad_u64_u32 v[5:6], s[10:11], v1, 24, v[7:8]
	v_and_b32_e32 v2, v2, v4
	v_mov_b32_e32 v1, v6
	v_mad_u64_u32 v[1:2], s[10:11], v2, 24, v[1:2]
	v_mov_b32_e32 v6, v1
	global_load_dwordx2 v[1:2], v[5:6], off glc
	s_waitcnt vmcnt(0)
	global_atomic_cmpswap_x2 v[5:6], v0, v[1:4], s[2:3] offset:24 glc
	s_waitcnt vmcnt(0)
	buffer_wbinvl1_vol
	v_cmp_eq_u64_e32 vcc, v[5:6], v[3:4]
	s_or_b64 s[8:9], vcc, s[8:9]
	s_andn2_b64 exec, exec, s[8:9]
	s_cbranch_execnz .LBB3_19
; %bb.20:
	s_or_b64 exec, exec, s[8:9]
.LBB3_21:
	s_or_b64 exec, exec, s[6:7]
.LBB3_22:
	s_or_b64 exec, exec, s[4:5]
	v_mov_b32_e32 v4, 0
	s_waitcnt lgkmcnt(0)
	global_load_dwordx2 v[7:8], v4, s[2:3] offset:40
	global_load_dwordx4 v[0:3], v4, s[2:3]
	v_readfirstlane_b32 s5, v6
	v_readfirstlane_b32 s4, v5
	s_mov_b64 s[6:7], exec
	s_waitcnt vmcnt(1)
	v_readfirstlane_b32 s8, v7
	v_readfirstlane_b32 s9, v8
	s_and_b64 s[8:9], s[8:9], s[4:5]
	s_mul_i32 s10, s9, 24
	s_mul_hi_u32 s11, s8, 24
	s_mul_i32 s12, s8, 24
	s_add_i32 s10, s11, s10
	v_mov_b32_e32 v5, s10
	s_waitcnt vmcnt(0)
	v_add_co_u32_e32 v7, vcc, s12, v0
	v_addc_co_u32_e32 v8, vcc, v1, v5, vcc
	s_and_saveexec_b64 s[10:11], s[0:1]
	s_cbranch_execz .LBB3_24
; %bb.23:
	v_mov_b32_e32 v10, s7
	v_mov_b32_e32 v9, s6
	;; [unrolled: 1-line block ×4, first 2 shown]
	global_store_dwordx4 v[7:8], v[9:12], off offset:8
.LBB3_24:
	s_or_b64 exec, exec, s[10:11]
	s_lshl_b64 s[6:7], s[8:9], 12
	v_mov_b32_e32 v5, s7
	v_add_co_u32_e32 v2, vcc, s6, v2
	v_addc_co_u32_e32 v11, vcc, v3, v5, vcc
	v_lshlrev_b32_e32 v31, 6, v32
	s_mov_b32 s8, 0
	v_mov_b32_e32 v3, 33
	v_mov_b32_e32 v5, v4
	;; [unrolled: 1-line block ×3, first 2 shown]
	v_readfirstlane_b32 s6, v2
	v_readfirstlane_b32 s7, v11
	v_add_co_u32_e32 v9, vcc, v2, v31
	s_mov_b32 s9, s8
	s_mov_b32 s10, s8
	;; [unrolled: 1-line block ×3, first 2 shown]
	s_nop 0
	global_store_dwordx4 v31, v[3:6], s[6:7]
	v_mov_b32_e32 v2, s8
	v_addc_co_u32_e32 v10, vcc, 0, v11, vcc
	v_mov_b32_e32 v3, s9
	v_mov_b32_e32 v4, s10
	;; [unrolled: 1-line block ×3, first 2 shown]
	global_store_dwordx4 v31, v[2:5], s[6:7] offset:16
	global_store_dwordx4 v31, v[2:5], s[6:7] offset:32
	;; [unrolled: 1-line block ×3, first 2 shown]
	s_and_saveexec_b64 s[6:7], s[0:1]
	s_cbranch_execz .LBB3_32
; %bb.25:
	v_mov_b32_e32 v6, 0
	global_load_dwordx2 v[13:14], v6, s[2:3] offset:32 glc
	global_load_dwordx2 v[2:3], v6, s[2:3] offset:40
	v_mov_b32_e32 v11, s4
	v_mov_b32_e32 v12, s5
	s_waitcnt vmcnt(0)
	v_and_b32_e32 v2, s4, v2
	v_and_b32_e32 v3, s5, v3
	v_mul_lo_u32 v3, v3, 24
	v_mul_hi_u32 v4, v2, 24
	v_mul_lo_u32 v2, v2, 24
	v_add_u32_e32 v3, v4, v3
	v_add_co_u32_e32 v4, vcc, v0, v2
	v_addc_co_u32_e32 v5, vcc, v1, v3, vcc
	global_store_dwordx2 v[4:5], v[13:14], off
	s_waitcnt vmcnt(0)
	global_atomic_cmpswap_x2 v[2:3], v6, v[11:14], s[2:3] offset:32 glc
	s_waitcnt vmcnt(0)
	v_cmp_ne_u64_e32 vcc, v[2:3], v[13:14]
	s_and_saveexec_b64 s[8:9], vcc
	s_cbranch_execz .LBB3_28
; %bb.26:
	s_mov_b64 s[10:11], 0
.LBB3_27:                               ; =>This Inner Loop Header: Depth=1
	s_sleep 1
	global_store_dwordx2 v[4:5], v[2:3], off
	v_mov_b32_e32 v0, s4
	v_mov_b32_e32 v1, s5
	s_waitcnt vmcnt(0)
	global_atomic_cmpswap_x2 v[0:1], v6, v[0:3], s[2:3] offset:32 glc
	s_waitcnt vmcnt(0)
	v_cmp_eq_u64_e32 vcc, v[0:1], v[2:3]
	v_mov_b32_e32 v3, v1
	s_or_b64 s[10:11], vcc, s[10:11]
	v_mov_b32_e32 v2, v0
	s_andn2_b64 exec, exec, s[10:11]
	s_cbranch_execnz .LBB3_27
.LBB3_28:
	s_or_b64 exec, exec, s[8:9]
	v_mov_b32_e32 v3, 0
	global_load_dwordx2 v[0:1], v3, s[2:3] offset:16
	s_mov_b64 s[8:9], exec
	v_mbcnt_lo_u32_b32 v2, s8, 0
	v_mbcnt_hi_u32_b32 v2, s9, v2
	v_cmp_eq_u32_e32 vcc, 0, v2
	s_and_saveexec_b64 s[10:11], vcc
	s_cbranch_execz .LBB3_30
; %bb.29:
	s_bcnt1_i32_b64 s8, s[8:9]
	v_mov_b32_e32 v2, s8
	s_waitcnt vmcnt(0)
	global_atomic_add_x2 v[0:1], v[2:3], off offset:8
.LBB3_30:
	s_or_b64 exec, exec, s[10:11]
	s_waitcnt vmcnt(0)
	global_load_dwordx2 v[2:3], v[0:1], off offset:16
	s_waitcnt vmcnt(0)
	v_cmp_eq_u64_e32 vcc, 0, v[2:3]
	s_cbranch_vccnz .LBB3_32
; %bb.31:
	global_load_dword v0, v[0:1], off offset:24
	v_mov_b32_e32 v1, 0
	s_waitcnt vmcnt(0)
	v_readfirstlane_b32 s8, v0
	s_and_b32 m0, s8, 0xffffff
	global_store_dwordx2 v[2:3], v[0:1], off
	s_sendmsg sendmsg(MSG_INTERRUPT)
.LBB3_32:
	s_or_b64 exec, exec, s[6:7]
	s_branch .LBB3_36
.LBB3_33:                               ;   in Loop: Header=BB3_36 Depth=1
	s_or_b64 exec, exec, s[6:7]
	v_readfirstlane_b32 s6, v0
	s_cmp_eq_u32 s6, 0
	s_cbranch_scc1 .LBB3_35
; %bb.34:                               ;   in Loop: Header=BB3_36 Depth=1
	s_sleep 1
	s_cbranch_execnz .LBB3_36
	s_branch .LBB3_38
.LBB3_35:
	s_branch .LBB3_38
.LBB3_36:                               ; =>This Inner Loop Header: Depth=1
	v_mov_b32_e32 v0, 1
	s_and_saveexec_b64 s[6:7], s[0:1]
	s_cbranch_execz .LBB3_33
; %bb.37:                               ;   in Loop: Header=BB3_36 Depth=1
	global_load_dword v0, v[7:8], off offset:20 glc
	s_waitcnt vmcnt(0)
	buffer_wbinvl1_vol
	v_and_b32_e32 v0, 1, v0
	s_branch .LBB3_33
.LBB3_38:
	global_load_dwordx2 v[0:1], v[9:10], off
	s_and_saveexec_b64 s[6:7], s[0:1]
	s_cbranch_execz .LBB3_41
; %bb.39:
	v_mov_b32_e32 v8, 0
	global_load_dwordx2 v[2:3], v8, s[2:3] offset:40
	global_load_dwordx2 v[11:12], v8, s[2:3] offset:24 glc
	global_load_dwordx2 v[4:5], v8, s[2:3]
	s_waitcnt vmcnt(2)
	v_readfirstlane_b32 s8, v2
	v_readfirstlane_b32 s9, v3
	s_add_u32 s10, s8, 1
	s_addc_u32 s11, s9, 0
	s_add_u32 s0, s10, s4
	s_addc_u32 s1, s11, s5
	s_cmp_eq_u64 s[0:1], 0
	s_cselect_b32 s1, s11, s1
	s_cselect_b32 s0, s10, s0
	s_and_b64 s[4:5], s[0:1], s[8:9]
	s_mul_i32 s5, s5, 24
	s_mul_hi_u32 s8, s4, 24
	s_mul_i32 s4, s4, 24
	s_add_i32 s5, s8, s5
	v_mov_b32_e32 v2, s5
	s_waitcnt vmcnt(0)
	v_add_co_u32_e32 v6, vcc, s4, v4
	v_addc_co_u32_e32 v7, vcc, v5, v2, vcc
	v_mov_b32_e32 v9, s0
	global_store_dwordx2 v[6:7], v[11:12], off
	v_mov_b32_e32 v10, s1
	s_waitcnt vmcnt(0)
	global_atomic_cmpswap_x2 v[4:5], v8, v[9:12], s[2:3] offset:24 glc
	s_mov_b64 s[4:5], 0
	s_waitcnt vmcnt(0)
	v_cmp_ne_u64_e32 vcc, v[4:5], v[11:12]
	s_and_b64 exec, exec, vcc
	s_cbranch_execz .LBB3_41
.LBB3_40:                               ; =>This Inner Loop Header: Depth=1
	s_sleep 1
	global_store_dwordx2 v[6:7], v[4:5], off
	v_mov_b32_e32 v2, s0
	v_mov_b32_e32 v3, s1
	s_waitcnt vmcnt(0)
	global_atomic_cmpswap_x2 v[2:3], v8, v[2:5], s[2:3] offset:24 glc
	s_waitcnt vmcnt(0)
	v_cmp_eq_u64_e32 vcc, v[2:3], v[4:5]
	v_mov_b32_e32 v5, v3
	s_or_b64 s[4:5], vcc, s[4:5]
	v_mov_b32_e32 v4, v2
	s_andn2_b64 exec, exec, s[4:5]
	s_cbranch_execnz .LBB3_40
.LBB3_41:
	s_or_b64 exec, exec, s[6:7]
	s_getpc_b64 s[4:5]
	s_add_u32 s4, s4, .str.2@rel32@lo+4
	s_addc_u32 s5, s5, .str.2@rel32@hi+12
	s_cmp_lg_u64 s[4:5], 0
	s_cselect_b64 s[0:1], -1, 0
	s_cmp_eq_u64 s[4:5], 0
	s_mov_b64 s[4:5], 0
	s_cbranch_scc1 .LBB3_45
; %bb.42:
	v_mov_b32_e32 v2, 0
	s_getpc_b64 s[4:5]
	s_add_u32 s4, s4, .str.2@rel32@lo+3
	s_addc_u32 s5, s5, .str.2@rel32@hi+11
.LBB3_43:                               ; =>This Inner Loop Header: Depth=1
	global_load_ubyte v3, v2, s[4:5] offset:1
	s_add_u32 s6, s4, 1
	s_addc_u32 s7, s5, 0
	s_mov_b64 s[4:5], s[6:7]
	s_waitcnt vmcnt(0)
	v_cmp_ne_u32_e32 vcc, 0, v3
	s_cbranch_vccnz .LBB3_43
; %bb.44:
	s_getpc_b64 s[4:5]
	s_add_u32 s4, s4, .str.2@rel32@lo+4
	s_addc_u32 s5, s5, .str.2@rel32@hi+12
	s_sub_u32 s4, s6, s4
	s_subb_u32 s5, s7, s5
	s_add_u32 s4, s4, 1
	s_addc_u32 s5, s5, 0
.LBB3_45:
	s_and_b64 vcc, exec, s[0:1]
	s_cbranch_vccz .LBB3_130
; %bb.46:
	s_waitcnt vmcnt(0)
	v_and_b32_e32 v33, 2, v0
	v_mov_b32_e32 v28, 0
	v_and_b32_e32 v4, -3, v0
	v_mov_b32_e32 v5, v1
	v_mov_b32_e32 v10, 2
	;; [unrolled: 1-line block ×3, first 2 shown]
	s_getpc_b64 s[6:7]
	s_add_u32 s6, s6, .str.2@rel32@lo+4
	s_addc_u32 s7, s7, .str.2@rel32@hi+12
	s_branch .LBB3_48
.LBB3_47:                               ;   in Loop: Header=BB3_48 Depth=1
	s_or_b64 exec, exec, s[12:13]
	s_sub_u32 s4, s4, s8
	s_subb_u32 s5, s5, s9
	s_add_u32 s6, s6, s8
	s_addc_u32 s7, s7, s9
	s_cmp_lg_u64 s[4:5], 0
	s_cbranch_scc0 .LBB3_131
.LBB3_48:                               ; =>This Loop Header: Depth=1
                                        ;     Child Loop BB3_51 Depth 2
                                        ;     Child Loop BB3_59 Depth 2
	;; [unrolled: 1-line block ×11, first 2 shown]
	v_cmp_lt_u64_e64 s[0:1], s[4:5], 56
	v_cmp_gt_u64_e64 s[10:11], s[4:5], 7
	s_and_b64 s[0:1], s[0:1], exec
	s_cselect_b32 s9, s5, 0
	s_cselect_b32 s8, s4, 56
	s_add_u32 s0, s6, 8
	s_addc_u32 s1, s7, 0
	s_and_b64 vcc, exec, s[10:11]
	s_cbranch_vccnz .LBB3_52
; %bb.49:                               ;   in Loop: Header=BB3_48 Depth=1
	s_cmp_eq_u64 s[4:5], 0
	s_cbranch_scc1 .LBB3_53
; %bb.50:                               ;   in Loop: Header=BB3_48 Depth=1
	v_mov_b32_e32 v6, 0
	s_lshl_b64 s[0:1], s[8:9], 3
	s_mov_b64 s[10:11], 0
	v_mov_b32_e32 v7, 0
	s_mov_b64 s[12:13], s[6:7]
.LBB3_51:                               ;   Parent Loop BB3_48 Depth=1
                                        ; =>  This Inner Loop Header: Depth=2
	global_load_ubyte v2, v28, s[12:13]
	s_waitcnt vmcnt(0)
	v_and_b32_e32 v27, 0xffff, v2
	v_lshlrev_b64 v[2:3], s10, v[27:28]
	s_add_u32 s10, s10, 8
	s_addc_u32 s11, s11, 0
	s_add_u32 s12, s12, 1
	s_addc_u32 s13, s13, 0
	v_or_b32_e32 v6, v2, v6
	s_cmp_lg_u32 s0, s10
	v_or_b32_e32 v7, v3, v7
	s_cbranch_scc1 .LBB3_51
	s_branch .LBB3_54
.LBB3_52:                               ;   in Loop: Header=BB3_48 Depth=1
	s_mov_b32 s14, 0
	s_branch .LBB3_55
.LBB3_53:                               ;   in Loop: Header=BB3_48 Depth=1
	v_mov_b32_e32 v6, 0
	v_mov_b32_e32 v7, 0
.LBB3_54:                               ;   in Loop: Header=BB3_48 Depth=1
	s_mov_b64 s[0:1], s[6:7]
	s_mov_b32 s14, 0
	s_cbranch_execnz .LBB3_56
.LBB3_55:                               ;   in Loop: Header=BB3_48 Depth=1
	global_load_dwordx2 v[6:7], v28, s[6:7]
	s_add_i32 s14, s8, -8
.LBB3_56:                               ;   in Loop: Header=BB3_48 Depth=1
	s_add_u32 s10, s0, 8
	s_addc_u32 s11, s1, 0
	s_cmp_gt_u32 s14, 7
	s_cbranch_scc1 .LBB3_60
; %bb.57:                               ;   in Loop: Header=BB3_48 Depth=1
	s_cmp_eq_u32 s14, 0
	s_cbranch_scc1 .LBB3_61
; %bb.58:                               ;   in Loop: Header=BB3_48 Depth=1
	v_mov_b32_e32 v12, 0
	s_mov_b64 s[10:11], 0
	v_mov_b32_e32 v13, 0
	s_mov_b64 s[12:13], 0
.LBB3_59:                               ;   Parent Loop BB3_48 Depth=1
                                        ; =>  This Inner Loop Header: Depth=2
	s_add_u32 s16, s0, s12
	s_addc_u32 s17, s1, s13
	global_load_ubyte v2, v28, s[16:17]
	s_add_u32 s12, s12, 1
	s_addc_u32 s13, s13, 0
	s_waitcnt vmcnt(0)
	v_and_b32_e32 v27, 0xffff, v2
	v_lshlrev_b64 v[2:3], s10, v[27:28]
	s_add_u32 s10, s10, 8
	s_addc_u32 s11, s11, 0
	v_or_b32_e32 v12, v2, v12
	s_cmp_lg_u32 s14, s12
	v_or_b32_e32 v13, v3, v13
	s_cbranch_scc1 .LBB3_59
	s_branch .LBB3_62
.LBB3_60:                               ;   in Loop: Header=BB3_48 Depth=1
                                        ; implicit-def: $vgpr12_vgpr13
	s_mov_b32 s15, 0
	s_branch .LBB3_63
.LBB3_61:                               ;   in Loop: Header=BB3_48 Depth=1
	v_mov_b32_e32 v12, 0
	v_mov_b32_e32 v13, 0
.LBB3_62:                               ;   in Loop: Header=BB3_48 Depth=1
	s_mov_b64 s[10:11], s[0:1]
	s_mov_b32 s15, 0
	s_cbranch_execnz .LBB3_64
.LBB3_63:                               ;   in Loop: Header=BB3_48 Depth=1
	global_load_dwordx2 v[12:13], v28, s[0:1]
	s_add_i32 s15, s14, -8
.LBB3_64:                               ;   in Loop: Header=BB3_48 Depth=1
	s_add_u32 s0, s10, 8
	s_addc_u32 s1, s11, 0
	s_cmp_gt_u32 s15, 7
	s_cbranch_scc1 .LBB3_68
; %bb.65:                               ;   in Loop: Header=BB3_48 Depth=1
	s_cmp_eq_u32 s15, 0
	s_cbranch_scc1 .LBB3_69
; %bb.66:                               ;   in Loop: Header=BB3_48 Depth=1
	v_mov_b32_e32 v14, 0
	s_mov_b64 s[0:1], 0
	v_mov_b32_e32 v15, 0
	s_mov_b64 s[12:13], 0
.LBB3_67:                               ;   Parent Loop BB3_48 Depth=1
                                        ; =>  This Inner Loop Header: Depth=2
	s_add_u32 s16, s10, s12
	s_addc_u32 s17, s11, s13
	global_load_ubyte v2, v28, s[16:17]
	s_add_u32 s12, s12, 1
	s_addc_u32 s13, s13, 0
	s_waitcnt vmcnt(0)
	v_and_b32_e32 v27, 0xffff, v2
	v_lshlrev_b64 v[2:3], s0, v[27:28]
	s_add_u32 s0, s0, 8
	s_addc_u32 s1, s1, 0
	v_or_b32_e32 v14, v2, v14
	s_cmp_lg_u32 s15, s12
	v_or_b32_e32 v15, v3, v15
	s_cbranch_scc1 .LBB3_67
	s_branch .LBB3_70
.LBB3_68:                               ;   in Loop: Header=BB3_48 Depth=1
	s_mov_b32 s14, 0
	s_branch .LBB3_71
.LBB3_69:                               ;   in Loop: Header=BB3_48 Depth=1
	v_mov_b32_e32 v14, 0
	v_mov_b32_e32 v15, 0
.LBB3_70:                               ;   in Loop: Header=BB3_48 Depth=1
	s_mov_b64 s[0:1], s[10:11]
	s_mov_b32 s14, 0
	s_cbranch_execnz .LBB3_72
.LBB3_71:                               ;   in Loop: Header=BB3_48 Depth=1
	global_load_dwordx2 v[14:15], v28, s[10:11]
	s_add_i32 s14, s15, -8
.LBB3_72:                               ;   in Loop: Header=BB3_48 Depth=1
	s_add_u32 s10, s0, 8
	s_addc_u32 s11, s1, 0
	s_cmp_gt_u32 s14, 7
	s_cbranch_scc1 .LBB3_76
; %bb.73:                               ;   in Loop: Header=BB3_48 Depth=1
	s_cmp_eq_u32 s14, 0
	s_cbranch_scc1 .LBB3_77
; %bb.74:                               ;   in Loop: Header=BB3_48 Depth=1
	v_mov_b32_e32 v16, 0
	s_mov_b64 s[10:11], 0
	v_mov_b32_e32 v17, 0
	s_mov_b64 s[12:13], 0
.LBB3_75:                               ;   Parent Loop BB3_48 Depth=1
                                        ; =>  This Inner Loop Header: Depth=2
	s_add_u32 s16, s0, s12
	s_addc_u32 s17, s1, s13
	global_load_ubyte v2, v28, s[16:17]
	s_add_u32 s12, s12, 1
	s_addc_u32 s13, s13, 0
	s_waitcnt vmcnt(0)
	v_and_b32_e32 v27, 0xffff, v2
	v_lshlrev_b64 v[2:3], s10, v[27:28]
	s_add_u32 s10, s10, 8
	s_addc_u32 s11, s11, 0
	v_or_b32_e32 v16, v2, v16
	s_cmp_lg_u32 s14, s12
	v_or_b32_e32 v17, v3, v17
	s_cbranch_scc1 .LBB3_75
	s_branch .LBB3_78
.LBB3_76:                               ;   in Loop: Header=BB3_48 Depth=1
                                        ; implicit-def: $vgpr16_vgpr17
	s_mov_b32 s15, 0
	s_branch .LBB3_79
.LBB3_77:                               ;   in Loop: Header=BB3_48 Depth=1
	v_mov_b32_e32 v16, 0
	v_mov_b32_e32 v17, 0
.LBB3_78:                               ;   in Loop: Header=BB3_48 Depth=1
	s_mov_b64 s[10:11], s[0:1]
	s_mov_b32 s15, 0
	s_cbranch_execnz .LBB3_80
.LBB3_79:                               ;   in Loop: Header=BB3_48 Depth=1
	global_load_dwordx2 v[16:17], v28, s[0:1]
	s_add_i32 s15, s14, -8
.LBB3_80:                               ;   in Loop: Header=BB3_48 Depth=1
	s_add_u32 s0, s10, 8
	s_addc_u32 s1, s11, 0
	s_cmp_gt_u32 s15, 7
	s_cbranch_scc1 .LBB3_84
; %bb.81:                               ;   in Loop: Header=BB3_48 Depth=1
	s_cmp_eq_u32 s15, 0
	s_cbranch_scc1 .LBB3_85
; %bb.82:                               ;   in Loop: Header=BB3_48 Depth=1
	v_mov_b32_e32 v18, 0
	s_mov_b64 s[0:1], 0
	v_mov_b32_e32 v19, 0
	s_mov_b64 s[12:13], 0
.LBB3_83:                               ;   Parent Loop BB3_48 Depth=1
                                        ; =>  This Inner Loop Header: Depth=2
	s_add_u32 s16, s10, s12
	s_addc_u32 s17, s11, s13
	global_load_ubyte v2, v28, s[16:17]
	s_add_u32 s12, s12, 1
	s_addc_u32 s13, s13, 0
	s_waitcnt vmcnt(0)
	v_and_b32_e32 v27, 0xffff, v2
	v_lshlrev_b64 v[2:3], s0, v[27:28]
	s_add_u32 s0, s0, 8
	s_addc_u32 s1, s1, 0
	v_or_b32_e32 v18, v2, v18
	s_cmp_lg_u32 s15, s12
	v_or_b32_e32 v19, v3, v19
	s_cbranch_scc1 .LBB3_83
	s_branch .LBB3_86
.LBB3_84:                               ;   in Loop: Header=BB3_48 Depth=1
	s_mov_b32 s14, 0
	s_branch .LBB3_87
.LBB3_85:                               ;   in Loop: Header=BB3_48 Depth=1
	v_mov_b32_e32 v18, 0
	v_mov_b32_e32 v19, 0
.LBB3_86:                               ;   in Loop: Header=BB3_48 Depth=1
	s_mov_b64 s[0:1], s[10:11]
	s_mov_b32 s14, 0
	s_cbranch_execnz .LBB3_88
.LBB3_87:                               ;   in Loop: Header=BB3_48 Depth=1
	global_load_dwordx2 v[18:19], v28, s[10:11]
	s_add_i32 s14, s15, -8
.LBB3_88:                               ;   in Loop: Header=BB3_48 Depth=1
	s_add_u32 s10, s0, 8
	s_addc_u32 s11, s1, 0
	s_cmp_gt_u32 s14, 7
	s_cbranch_scc1 .LBB3_92
; %bb.89:                               ;   in Loop: Header=BB3_48 Depth=1
	s_cmp_eq_u32 s14, 0
	s_cbranch_scc1 .LBB3_93
; %bb.90:                               ;   in Loop: Header=BB3_48 Depth=1
	v_mov_b32_e32 v20, 0
	s_mov_b64 s[10:11], 0
	v_mov_b32_e32 v21, 0
	s_mov_b64 s[12:13], 0
.LBB3_91:                               ;   Parent Loop BB3_48 Depth=1
                                        ; =>  This Inner Loop Header: Depth=2
	s_add_u32 s16, s0, s12
	s_addc_u32 s17, s1, s13
	global_load_ubyte v2, v28, s[16:17]
	s_add_u32 s12, s12, 1
	s_addc_u32 s13, s13, 0
	s_waitcnt vmcnt(0)
	v_and_b32_e32 v27, 0xffff, v2
	v_lshlrev_b64 v[2:3], s10, v[27:28]
	s_add_u32 s10, s10, 8
	s_addc_u32 s11, s11, 0
	v_or_b32_e32 v20, v2, v20
	s_cmp_lg_u32 s14, s12
	v_or_b32_e32 v21, v3, v21
	s_cbranch_scc1 .LBB3_91
	s_branch .LBB3_94
.LBB3_92:                               ;   in Loop: Header=BB3_48 Depth=1
                                        ; implicit-def: $vgpr20_vgpr21
	s_mov_b32 s15, 0
	s_branch .LBB3_95
.LBB3_93:                               ;   in Loop: Header=BB3_48 Depth=1
	v_mov_b32_e32 v20, 0
	v_mov_b32_e32 v21, 0
.LBB3_94:                               ;   in Loop: Header=BB3_48 Depth=1
	s_mov_b64 s[10:11], s[0:1]
	s_mov_b32 s15, 0
	s_cbranch_execnz .LBB3_96
.LBB3_95:                               ;   in Loop: Header=BB3_48 Depth=1
	global_load_dwordx2 v[20:21], v28, s[0:1]
	s_add_i32 s15, s14, -8
.LBB3_96:                               ;   in Loop: Header=BB3_48 Depth=1
	s_cmp_gt_u32 s15, 7
	s_cbranch_scc1 .LBB3_100
; %bb.97:                               ;   in Loop: Header=BB3_48 Depth=1
	s_cmp_eq_u32 s15, 0
	s_cbranch_scc1 .LBB3_101
; %bb.98:                               ;   in Loop: Header=BB3_48 Depth=1
	v_mov_b32_e32 v22, 0
	s_mov_b64 s[0:1], 0
	v_mov_b32_e32 v23, 0
	s_mov_b64 s[12:13], s[10:11]
.LBB3_99:                               ;   Parent Loop BB3_48 Depth=1
                                        ; =>  This Inner Loop Header: Depth=2
	global_load_ubyte v2, v28, s[12:13]
	s_add_i32 s15, s15, -1
	s_waitcnt vmcnt(0)
	v_and_b32_e32 v27, 0xffff, v2
	v_lshlrev_b64 v[2:3], s0, v[27:28]
	s_add_u32 s0, s0, 8
	s_addc_u32 s1, s1, 0
	s_add_u32 s12, s12, 1
	s_addc_u32 s13, s13, 0
	v_or_b32_e32 v22, v2, v22
	s_cmp_lg_u32 s15, 0
	v_or_b32_e32 v23, v3, v23
	s_cbranch_scc1 .LBB3_99
	s_branch .LBB3_102
.LBB3_100:                              ;   in Loop: Header=BB3_48 Depth=1
	s_branch .LBB3_103
.LBB3_101:                              ;   in Loop: Header=BB3_48 Depth=1
	v_mov_b32_e32 v22, 0
	v_mov_b32_e32 v23, 0
.LBB3_102:                              ;   in Loop: Header=BB3_48 Depth=1
	s_cbranch_execnz .LBB3_104
.LBB3_103:                              ;   in Loop: Header=BB3_48 Depth=1
	global_load_dwordx2 v[22:23], v28, s[10:11]
.LBB3_104:                              ;   in Loop: Header=BB3_48 Depth=1
	v_readfirstlane_b32 s0, v32
	v_mov_b32_e32 v2, 0
	v_mov_b32_e32 v3, 0
	v_cmp_eq_u32_e64 s[0:1], s0, v32
	s_and_saveexec_b64 s[10:11], s[0:1]
	s_cbranch_execz .LBB3_110
; %bb.105:                              ;   in Loop: Header=BB3_48 Depth=1
	global_load_dwordx2 v[26:27], v28, s[2:3] offset:24 glc
	s_waitcnt vmcnt(0)
	buffer_wbinvl1_vol
	global_load_dwordx2 v[2:3], v28, s[2:3] offset:40
	global_load_dwordx2 v[8:9], v28, s[2:3]
	s_waitcnt vmcnt(1)
	v_and_b32_e32 v2, v2, v26
	v_and_b32_e32 v3, v3, v27
	v_mul_lo_u32 v3, v3, 24
	v_mul_hi_u32 v24, v2, 24
	v_mul_lo_u32 v2, v2, 24
	v_add_u32_e32 v3, v24, v3
	s_waitcnt vmcnt(0)
	v_add_co_u32_e32 v2, vcc, v8, v2
	v_addc_co_u32_e32 v3, vcc, v9, v3, vcc
	global_load_dwordx2 v[24:25], v[2:3], off glc
	s_waitcnt vmcnt(0)
	global_atomic_cmpswap_x2 v[2:3], v28, v[24:27], s[2:3] offset:24 glc
	s_waitcnt vmcnt(0)
	buffer_wbinvl1_vol
	v_cmp_ne_u64_e32 vcc, v[2:3], v[26:27]
	s_and_saveexec_b64 s[12:13], vcc
	s_cbranch_execz .LBB3_109
; %bb.106:                              ;   in Loop: Header=BB3_48 Depth=1
	s_mov_b64 s[14:15], 0
.LBB3_107:                              ;   Parent Loop BB3_48 Depth=1
                                        ; =>  This Inner Loop Header: Depth=2
	s_sleep 1
	global_load_dwordx2 v[8:9], v28, s[2:3] offset:40
	global_load_dwordx2 v[24:25], v28, s[2:3]
	v_mov_b32_e32 v27, v3
	v_mov_b32_e32 v26, v2
	s_waitcnt vmcnt(1)
	v_and_b32_e32 v2, v8, v26
	s_waitcnt vmcnt(0)
	v_mad_u64_u32 v[2:3], s[16:17], v2, 24, v[24:25]
	v_and_b32_e32 v8, v9, v27
	v_mad_u64_u32 v[8:9], s[16:17], v8, 24, v[3:4]
	v_mov_b32_e32 v3, v8
	global_load_dwordx2 v[24:25], v[2:3], off glc
	s_waitcnt vmcnt(0)
	global_atomic_cmpswap_x2 v[2:3], v28, v[24:27], s[2:3] offset:24 glc
	s_waitcnt vmcnt(0)
	buffer_wbinvl1_vol
	v_cmp_eq_u64_e32 vcc, v[2:3], v[26:27]
	s_or_b64 s[14:15], vcc, s[14:15]
	s_andn2_b64 exec, exec, s[14:15]
	s_cbranch_execnz .LBB3_107
; %bb.108:                              ;   in Loop: Header=BB3_48 Depth=1
	s_or_b64 exec, exec, s[14:15]
.LBB3_109:                              ;   in Loop: Header=BB3_48 Depth=1
	s_or_b64 exec, exec, s[12:13]
.LBB3_110:                              ;   in Loop: Header=BB3_48 Depth=1
	s_or_b64 exec, exec, s[10:11]
	global_load_dwordx2 v[8:9], v28, s[2:3] offset:40
	global_load_dwordx4 v[24:27], v28, s[2:3]
	v_readfirstlane_b32 s11, v3
	v_readfirstlane_b32 s10, v2
	s_mov_b64 s[12:13], exec
	s_waitcnt vmcnt(1)
	v_readfirstlane_b32 s14, v8
	v_readfirstlane_b32 s15, v9
	s_and_b64 s[14:15], s[14:15], s[10:11]
	s_mul_i32 s16, s15, 24
	s_mul_hi_u32 s17, s14, 24
	s_mul_i32 s18, s14, 24
	s_add_i32 s16, s17, s16
	v_mov_b32_e32 v2, s16
	s_waitcnt vmcnt(0)
	v_add_co_u32_e32 v29, vcc, s18, v24
	v_addc_co_u32_e32 v30, vcc, v25, v2, vcc
	s_and_saveexec_b64 s[16:17], s[0:1]
	s_cbranch_execz .LBB3_112
; %bb.111:                              ;   in Loop: Header=BB3_48 Depth=1
	v_mov_b32_e32 v8, s12
	v_mov_b32_e32 v9, s13
	global_store_dwordx4 v[29:30], v[8:11], off offset:8
.LBB3_112:                              ;   in Loop: Header=BB3_48 Depth=1
	s_or_b64 exec, exec, s[16:17]
	s_lshl_b64 s[12:13], s[14:15], 12
	v_mov_b32_e32 v2, s13
	v_add_co_u32_e32 v8, vcc, s12, v26
	v_addc_co_u32_e32 v9, vcc, v27, v2, vcc
	v_cmp_lt_u64_e64 vcc, s[4:5], 57
	s_lshl_b32 s12, s8, 2
	v_cndmask_b32_e32 v2, 0, v33, vcc
	s_add_i32 s12, s12, 28
	v_and_b32_e32 v3, 0xffffff1f, v4
	s_and_b32 s12, s12, 0x1e0
	v_or_b32_e32 v2, v3, v2
	v_or_b32_e32 v4, s12, v2
	v_readfirstlane_b32 s12, v8
	v_readfirstlane_b32 s13, v9
	s_nop 4
	global_store_dwordx4 v31, v[4:7], s[12:13]
	global_store_dwordx4 v31, v[12:15], s[12:13] offset:16
	global_store_dwordx4 v31, v[16:19], s[12:13] offset:32
	;; [unrolled: 1-line block ×3, first 2 shown]
	s_and_saveexec_b64 s[12:13], s[0:1]
	s_cbranch_execz .LBB3_120
; %bb.113:                              ;   in Loop: Header=BB3_48 Depth=1
	global_load_dwordx2 v[14:15], v28, s[2:3] offset:32 glc
	global_load_dwordx2 v[2:3], v28, s[2:3] offset:40
	v_mov_b32_e32 v12, s10
	v_mov_b32_e32 v13, s11
	s_waitcnt vmcnt(0)
	v_readfirstlane_b32 s14, v2
	v_readfirstlane_b32 s15, v3
	s_and_b64 s[14:15], s[14:15], s[10:11]
	s_mul_i32 s15, s15, 24
	s_mul_hi_u32 s16, s14, 24
	s_mul_i32 s14, s14, 24
	s_add_i32 s15, s16, s15
	v_mov_b32_e32 v2, s15
	v_add_co_u32_e32 v6, vcc, s14, v24
	v_addc_co_u32_e32 v7, vcc, v25, v2, vcc
	global_store_dwordx2 v[6:7], v[14:15], off
	s_waitcnt vmcnt(0)
	global_atomic_cmpswap_x2 v[4:5], v28, v[12:15], s[2:3] offset:32 glc
	s_waitcnt vmcnt(0)
	v_cmp_ne_u64_e32 vcc, v[4:5], v[14:15]
	s_and_saveexec_b64 s[14:15], vcc
	s_cbranch_execz .LBB3_116
; %bb.114:                              ;   in Loop: Header=BB3_48 Depth=1
	s_mov_b64 s[16:17], 0
.LBB3_115:                              ;   Parent Loop BB3_48 Depth=1
                                        ; =>  This Inner Loop Header: Depth=2
	s_sleep 1
	global_store_dwordx2 v[6:7], v[4:5], off
	v_mov_b32_e32 v2, s10
	v_mov_b32_e32 v3, s11
	s_waitcnt vmcnt(0)
	global_atomic_cmpswap_x2 v[2:3], v28, v[2:5], s[2:3] offset:32 glc
	s_waitcnt vmcnt(0)
	v_cmp_eq_u64_e32 vcc, v[2:3], v[4:5]
	v_mov_b32_e32 v5, v3
	s_or_b64 s[16:17], vcc, s[16:17]
	v_mov_b32_e32 v4, v2
	s_andn2_b64 exec, exec, s[16:17]
	s_cbranch_execnz .LBB3_115
.LBB3_116:                              ;   in Loop: Header=BB3_48 Depth=1
	s_or_b64 exec, exec, s[14:15]
	global_load_dwordx2 v[2:3], v28, s[2:3] offset:16
	s_mov_b64 s[16:17], exec
	v_mbcnt_lo_u32_b32 v4, s16, 0
	v_mbcnt_hi_u32_b32 v4, s17, v4
	v_cmp_eq_u32_e32 vcc, 0, v4
	s_and_saveexec_b64 s[14:15], vcc
	s_cbranch_execz .LBB3_118
; %bb.117:                              ;   in Loop: Header=BB3_48 Depth=1
	s_bcnt1_i32_b64 s16, s[16:17]
	v_mov_b32_e32 v27, s16
	s_waitcnt vmcnt(0)
	global_atomic_add_x2 v[2:3], v[27:28], off offset:8
.LBB3_118:                              ;   in Loop: Header=BB3_48 Depth=1
	s_or_b64 exec, exec, s[14:15]
	s_waitcnt vmcnt(0)
	global_load_dwordx2 v[4:5], v[2:3], off offset:16
	s_waitcnt vmcnt(0)
	v_cmp_eq_u64_e32 vcc, 0, v[4:5]
	s_cbranch_vccnz .LBB3_120
; %bb.119:                              ;   in Loop: Header=BB3_48 Depth=1
	global_load_dword v27, v[2:3], off offset:24
	s_waitcnt vmcnt(0)
	v_readfirstlane_b32 s14, v27
	s_and_b32 m0, s14, 0xffffff
	global_store_dwordx2 v[4:5], v[27:28], off
	s_sendmsg sendmsg(MSG_INTERRUPT)
.LBB3_120:                              ;   in Loop: Header=BB3_48 Depth=1
	s_or_b64 exec, exec, s[12:13]
	v_add_co_u32_e32 v2, vcc, v8, v31
	v_addc_co_u32_e32 v3, vcc, 0, v9, vcc
	s_branch .LBB3_124
.LBB3_121:                              ;   in Loop: Header=BB3_124 Depth=2
	s_or_b64 exec, exec, s[12:13]
	v_readfirstlane_b32 s12, v4
	s_cmp_eq_u32 s12, 0
	s_cbranch_scc1 .LBB3_123
; %bb.122:                              ;   in Loop: Header=BB3_124 Depth=2
	s_sleep 1
	s_cbranch_execnz .LBB3_124
	s_branch .LBB3_126
.LBB3_123:                              ;   in Loop: Header=BB3_48 Depth=1
	s_branch .LBB3_126
.LBB3_124:                              ;   Parent Loop BB3_48 Depth=1
                                        ; =>  This Inner Loop Header: Depth=2
	v_mov_b32_e32 v4, 1
	s_and_saveexec_b64 s[12:13], s[0:1]
	s_cbranch_execz .LBB3_121
; %bb.125:                              ;   in Loop: Header=BB3_124 Depth=2
	global_load_dword v4, v[29:30], off offset:20 glc
	s_waitcnt vmcnt(0)
	buffer_wbinvl1_vol
	v_and_b32_e32 v4, 1, v4
	s_branch .LBB3_121
.LBB3_126:                              ;   in Loop: Header=BB3_48 Depth=1
	global_load_dwordx2 v[4:5], v[2:3], off
	s_and_saveexec_b64 s[12:13], s[0:1]
	s_cbranch_execz .LBB3_47
; %bb.127:                              ;   in Loop: Header=BB3_48 Depth=1
	global_load_dwordx2 v[2:3], v28, s[2:3] offset:40
	global_load_dwordx2 v[14:15], v28, s[2:3] offset:24 glc
	global_load_dwordx2 v[6:7], v28, s[2:3]
	s_waitcnt vmcnt(2)
	v_readfirstlane_b32 s14, v2
	v_readfirstlane_b32 s15, v3
	s_add_u32 s16, s14, 1
	s_addc_u32 s17, s15, 0
	s_add_u32 s0, s16, s10
	s_addc_u32 s1, s17, s11
	s_cmp_eq_u64 s[0:1], 0
	s_cselect_b32 s1, s17, s1
	s_cselect_b32 s0, s16, s0
	s_and_b64 s[10:11], s[0:1], s[14:15]
	s_mul_i32 s11, s11, 24
	s_mul_hi_u32 s14, s10, 24
	s_mul_i32 s10, s10, 24
	s_add_i32 s11, s14, s11
	v_mov_b32_e32 v3, s11
	s_waitcnt vmcnt(0)
	v_add_co_u32_e32 v2, vcc, s10, v6
	v_addc_co_u32_e32 v3, vcc, v7, v3, vcc
	v_mov_b32_e32 v12, s0
	global_store_dwordx2 v[2:3], v[14:15], off
	v_mov_b32_e32 v13, s1
	s_waitcnt vmcnt(0)
	global_atomic_cmpswap_x2 v[8:9], v28, v[12:15], s[2:3] offset:24 glc
	s_waitcnt vmcnt(0)
	v_cmp_ne_u64_e32 vcc, v[8:9], v[14:15]
	s_and_b64 exec, exec, vcc
	s_cbranch_execz .LBB3_47
; %bb.128:                              ;   in Loop: Header=BB3_48 Depth=1
	s_mov_b64 s[10:11], 0
.LBB3_129:                              ;   Parent Loop BB3_48 Depth=1
                                        ; =>  This Inner Loop Header: Depth=2
	s_sleep 1
	global_store_dwordx2 v[2:3], v[8:9], off
	v_mov_b32_e32 v6, s0
	v_mov_b32_e32 v7, s1
	s_waitcnt vmcnt(0)
	global_atomic_cmpswap_x2 v[6:7], v28, v[6:9], s[2:3] offset:24 glc
	s_waitcnt vmcnt(0)
	v_cmp_eq_u64_e32 vcc, v[6:7], v[8:9]
	v_mov_b32_e32 v9, v7
	s_or_b64 s[10:11], vcc, s[10:11]
	v_mov_b32_e32 v8, v6
	s_andn2_b64 exec, exec, s[10:11]
	s_cbranch_execnz .LBB3_129
	s_branch .LBB3_47
.LBB3_130:
	s_mov_b64 s[0:1], -1
                                        ; implicit-def: $vgpr4_vgpr5
	s_branch .LBB3_132
.LBB3_131:
	s_mov_b64 s[0:1], 0
.LBB3_132:
	s_and_b64 vcc, exec, s[0:1]
	s_cbranch_vccz .LBB3_159
; %bb.133:
	v_readfirstlane_b32 s0, v32
	v_mov_b32_e32 v8, 0
	v_mov_b32_e32 v9, 0
	v_cmp_eq_u32_e64 s[0:1], s0, v32
	s_and_saveexec_b64 s[4:5], s[0:1]
	s_cbranch_execz .LBB3_139
; %bb.134:
	v_mov_b32_e32 v2, 0
	global_load_dwordx2 v[5:6], v2, s[2:3] offset:24 glc
	s_waitcnt vmcnt(0)
	buffer_wbinvl1_vol
	global_load_dwordx2 v[3:4], v2, s[2:3] offset:40
	global_load_dwordx2 v[7:8], v2, s[2:3]
	s_waitcnt vmcnt(1)
	v_and_b32_e32 v3, v3, v5
	v_and_b32_e32 v4, v4, v6
	v_mul_lo_u32 v4, v4, 24
	v_mul_hi_u32 v9, v3, 24
	v_mul_lo_u32 v3, v3, 24
	v_add_u32_e32 v4, v9, v4
	s_waitcnt vmcnt(0)
	v_add_co_u32_e32 v3, vcc, v7, v3
	v_addc_co_u32_e32 v4, vcc, v8, v4, vcc
	global_load_dwordx2 v[3:4], v[3:4], off glc
	s_waitcnt vmcnt(0)
	global_atomic_cmpswap_x2 v[8:9], v2, v[3:6], s[2:3] offset:24 glc
	s_waitcnt vmcnt(0)
	buffer_wbinvl1_vol
	v_cmp_ne_u64_e32 vcc, v[8:9], v[5:6]
	s_and_saveexec_b64 s[6:7], vcc
	s_cbranch_execz .LBB3_138
; %bb.135:
	s_mov_b64 s[8:9], 0
.LBB3_136:                              ; =>This Inner Loop Header: Depth=1
	s_sleep 1
	global_load_dwordx2 v[3:4], v2, s[2:3] offset:40
	global_load_dwordx2 v[10:11], v2, s[2:3]
	v_mov_b32_e32 v5, v8
	v_mov_b32_e32 v6, v9
	s_waitcnt vmcnt(1)
	v_and_b32_e32 v3, v3, v5
	s_waitcnt vmcnt(0)
	v_mad_u64_u32 v[7:8], s[10:11], v3, 24, v[10:11]
	v_and_b32_e32 v4, v4, v6
	v_mov_b32_e32 v3, v8
	v_mad_u64_u32 v[3:4], s[10:11], v4, 24, v[3:4]
	v_mov_b32_e32 v8, v3
	global_load_dwordx2 v[3:4], v[7:8], off glc
	s_waitcnt vmcnt(0)
	global_atomic_cmpswap_x2 v[8:9], v2, v[3:6], s[2:3] offset:24 glc
	s_waitcnt vmcnt(0)
	buffer_wbinvl1_vol
	v_cmp_eq_u64_e32 vcc, v[8:9], v[5:6]
	s_or_b64 s[8:9], vcc, s[8:9]
	s_andn2_b64 exec, exec, s[8:9]
	s_cbranch_execnz .LBB3_136
; %bb.137:
	s_or_b64 exec, exec, s[8:9]
.LBB3_138:
	s_or_b64 exec, exec, s[6:7]
.LBB3_139:
	s_or_b64 exec, exec, s[4:5]
	v_mov_b32_e32 v2, 0
	global_load_dwordx2 v[10:11], v2, s[2:3] offset:40
	global_load_dwordx4 v[4:7], v2, s[2:3]
	v_readfirstlane_b32 s5, v9
	v_readfirstlane_b32 s4, v8
	s_mov_b64 s[6:7], exec
	s_waitcnt vmcnt(1)
	v_readfirstlane_b32 s8, v10
	v_readfirstlane_b32 s9, v11
	s_and_b64 s[8:9], s[8:9], s[4:5]
	s_mul_i32 s10, s9, 24
	s_mul_hi_u32 s11, s8, 24
	s_mul_i32 s12, s8, 24
	s_add_i32 s10, s11, s10
	v_mov_b32_e32 v3, s10
	s_waitcnt vmcnt(0)
	v_add_co_u32_e32 v8, vcc, s12, v4
	v_addc_co_u32_e32 v9, vcc, v5, v3, vcc
	s_and_saveexec_b64 s[10:11], s[0:1]
	s_cbranch_execz .LBB3_141
; %bb.140:
	v_mov_b32_e32 v11, s7
	v_mov_b32_e32 v10, s6
	;; [unrolled: 1-line block ×4, first 2 shown]
	global_store_dwordx4 v[8:9], v[10:13], off offset:8
.LBB3_141:
	s_or_b64 exec, exec, s[10:11]
	s_lshl_b64 s[6:7], s[8:9], 12
	v_mov_b32_e32 v3, s7
	v_add_co_u32_e32 v10, vcc, s6, v6
	v_addc_co_u32_e32 v11, vcc, v7, v3, vcc
	s_movk_i32 s6, 0xff1f
	v_and_or_b32 v0, v0, s6, 32
	s_mov_b32 s8, 0
	v_mov_b32_e32 v3, v2
	v_readfirstlane_b32 s6, v10
	v_readfirstlane_b32 s7, v11
	v_add_co_u32_e32 v6, vcc, v10, v31
	s_mov_b32 s9, s8
	s_mov_b32 s10, s8
	;; [unrolled: 1-line block ×3, first 2 shown]
	s_nop 0
	global_store_dwordx4 v31, v[0:3], s[6:7]
	v_addc_co_u32_e32 v7, vcc, 0, v11, vcc
	v_mov_b32_e32 v0, s8
	v_mov_b32_e32 v1, s9
	;; [unrolled: 1-line block ×4, first 2 shown]
	global_store_dwordx4 v31, v[0:3], s[6:7] offset:16
	global_store_dwordx4 v31, v[0:3], s[6:7] offset:32
	;; [unrolled: 1-line block ×3, first 2 shown]
	s_and_saveexec_b64 s[6:7], s[0:1]
	s_cbranch_execz .LBB3_149
; %bb.142:
	v_mov_b32_e32 v10, 0
	global_load_dwordx2 v[13:14], v10, s[2:3] offset:32 glc
	global_load_dwordx2 v[0:1], v10, s[2:3] offset:40
	v_mov_b32_e32 v11, s4
	v_mov_b32_e32 v12, s5
	s_waitcnt vmcnt(0)
	v_readfirstlane_b32 s8, v0
	v_readfirstlane_b32 s9, v1
	s_and_b64 s[8:9], s[8:9], s[4:5]
	s_mul_i32 s9, s9, 24
	s_mul_hi_u32 s10, s8, 24
	s_mul_i32 s8, s8, 24
	s_add_i32 s9, s10, s9
	v_mov_b32_e32 v0, s9
	v_add_co_u32_e32 v4, vcc, s8, v4
	v_addc_co_u32_e32 v5, vcc, v5, v0, vcc
	global_store_dwordx2 v[4:5], v[13:14], off
	s_waitcnt vmcnt(0)
	global_atomic_cmpswap_x2 v[2:3], v10, v[11:14], s[2:3] offset:32 glc
	s_waitcnt vmcnt(0)
	v_cmp_ne_u64_e32 vcc, v[2:3], v[13:14]
	s_and_saveexec_b64 s[8:9], vcc
	s_cbranch_execz .LBB3_145
; %bb.143:
	s_mov_b64 s[10:11], 0
.LBB3_144:                              ; =>This Inner Loop Header: Depth=1
	s_sleep 1
	global_store_dwordx2 v[4:5], v[2:3], off
	v_mov_b32_e32 v0, s4
	v_mov_b32_e32 v1, s5
	s_waitcnt vmcnt(0)
	global_atomic_cmpswap_x2 v[0:1], v10, v[0:3], s[2:3] offset:32 glc
	s_waitcnt vmcnt(0)
	v_cmp_eq_u64_e32 vcc, v[0:1], v[2:3]
	v_mov_b32_e32 v3, v1
	s_or_b64 s[10:11], vcc, s[10:11]
	v_mov_b32_e32 v2, v0
	s_andn2_b64 exec, exec, s[10:11]
	s_cbranch_execnz .LBB3_144
.LBB3_145:
	s_or_b64 exec, exec, s[8:9]
	v_mov_b32_e32 v3, 0
	global_load_dwordx2 v[0:1], v3, s[2:3] offset:16
	s_mov_b64 s[8:9], exec
	v_mbcnt_lo_u32_b32 v2, s8, 0
	v_mbcnt_hi_u32_b32 v2, s9, v2
	v_cmp_eq_u32_e32 vcc, 0, v2
	s_and_saveexec_b64 s[10:11], vcc
	s_cbranch_execz .LBB3_147
; %bb.146:
	s_bcnt1_i32_b64 s8, s[8:9]
	v_mov_b32_e32 v2, s8
	s_waitcnt vmcnt(0)
	global_atomic_add_x2 v[0:1], v[2:3], off offset:8
.LBB3_147:
	s_or_b64 exec, exec, s[10:11]
	s_waitcnt vmcnt(0)
	global_load_dwordx2 v[2:3], v[0:1], off offset:16
	s_waitcnt vmcnt(0)
	v_cmp_eq_u64_e32 vcc, 0, v[2:3]
	s_cbranch_vccnz .LBB3_149
; %bb.148:
	global_load_dword v0, v[0:1], off offset:24
	v_mov_b32_e32 v1, 0
	s_waitcnt vmcnt(0)
	v_readfirstlane_b32 s8, v0
	s_and_b32 m0, s8, 0xffffff
	global_store_dwordx2 v[2:3], v[0:1], off
	s_sendmsg sendmsg(MSG_INTERRUPT)
.LBB3_149:
	s_or_b64 exec, exec, s[6:7]
	s_branch .LBB3_153
.LBB3_150:                              ;   in Loop: Header=BB3_153 Depth=1
	s_or_b64 exec, exec, s[6:7]
	v_readfirstlane_b32 s6, v0
	s_cmp_eq_u32 s6, 0
	s_cbranch_scc1 .LBB3_152
; %bb.151:                              ;   in Loop: Header=BB3_153 Depth=1
	s_sleep 1
	s_cbranch_execnz .LBB3_153
	s_branch .LBB3_155
.LBB3_152:
	s_branch .LBB3_155
.LBB3_153:                              ; =>This Inner Loop Header: Depth=1
	v_mov_b32_e32 v0, 1
	s_and_saveexec_b64 s[6:7], s[0:1]
	s_cbranch_execz .LBB3_150
; %bb.154:                              ;   in Loop: Header=BB3_153 Depth=1
	global_load_dword v0, v[8:9], off offset:20 glc
	s_waitcnt vmcnt(0)
	buffer_wbinvl1_vol
	v_and_b32_e32 v0, 1, v0
	s_branch .LBB3_150
.LBB3_155:
	global_load_dwordx2 v[4:5], v[6:7], off
	s_and_saveexec_b64 s[6:7], s[0:1]
	s_cbranch_execz .LBB3_158
; %bb.156:
	v_mov_b32_e32 v8, 0
	global_load_dwordx2 v[0:1], v8, s[2:3] offset:40
	global_load_dwordx2 v[11:12], v8, s[2:3] offset:24 glc
	global_load_dwordx2 v[2:3], v8, s[2:3]
	s_waitcnt vmcnt(2)
	v_readfirstlane_b32 s8, v0
	v_readfirstlane_b32 s9, v1
	s_add_u32 s10, s8, 1
	s_addc_u32 s11, s9, 0
	s_add_u32 s0, s10, s4
	s_addc_u32 s1, s11, s5
	s_cmp_eq_u64 s[0:1], 0
	s_cselect_b32 s1, s11, s1
	s_cselect_b32 s0, s10, s0
	s_and_b64 s[4:5], s[0:1], s[8:9]
	s_mul_i32 s5, s5, 24
	s_mul_hi_u32 s8, s4, 24
	s_mul_i32 s4, s4, 24
	s_add_i32 s5, s8, s5
	v_mov_b32_e32 v0, s5
	s_waitcnt vmcnt(0)
	v_add_co_u32_e32 v6, vcc, s4, v2
	v_addc_co_u32_e32 v7, vcc, v3, v0, vcc
	v_mov_b32_e32 v9, s0
	global_store_dwordx2 v[6:7], v[11:12], off
	v_mov_b32_e32 v10, s1
	s_waitcnt vmcnt(0)
	global_atomic_cmpswap_x2 v[2:3], v8, v[9:12], s[2:3] offset:24 glc
	s_mov_b64 s[4:5], 0
	s_waitcnt vmcnt(0)
	v_cmp_ne_u64_e32 vcc, v[2:3], v[11:12]
	s_and_b64 exec, exec, vcc
	s_cbranch_execz .LBB3_158
.LBB3_157:                              ; =>This Inner Loop Header: Depth=1
	s_sleep 1
	global_store_dwordx2 v[6:7], v[2:3], off
	v_mov_b32_e32 v0, s0
	v_mov_b32_e32 v1, s1
	s_waitcnt vmcnt(0)
	global_atomic_cmpswap_x2 v[0:1], v8, v[0:3], s[2:3] offset:24 glc
	s_waitcnt vmcnt(0)
	v_cmp_eq_u64_e32 vcc, v[0:1], v[2:3]
	v_mov_b32_e32 v3, v1
	s_or_b64 s[4:5], vcc, s[4:5]
	v_mov_b32_e32 v2, v0
	s_andn2_b64 exec, exec, s[4:5]
	s_cbranch_execnz .LBB3_157
.LBB3_158:
	s_or_b64 exec, exec, s[6:7]
.LBB3_159:
	s_getpc_b64 s[4:5]
	s_add_u32 s4, s4, .str.1@rel32@lo+4
	s_addc_u32 s5, s5, .str.1@rel32@hi+12
	s_cmp_lg_u64 s[4:5], 0
	s_cbranch_scc0 .LBB3_244
; %bb.160:
	s_waitcnt vmcnt(0)
	v_and_b32_e32 v29, 2, v4
	v_mov_b32_e32 v26, 0
	v_and_b32_e32 v0, -3, v4
	v_mov_b32_e32 v1, v5
	s_mov_b64 s[6:7], 0x61
	v_mov_b32_e32 v8, 2
	v_mov_b32_e32 v9, 1
	s_branch .LBB3_162
.LBB3_161:                              ;   in Loop: Header=BB3_162 Depth=1
	s_or_b64 exec, exec, s[12:13]
	s_sub_u32 s6, s6, s8
	s_subb_u32 s7, s7, s9
	s_add_u32 s4, s4, s8
	s_addc_u32 s5, s5, s9
	s_cmp_lg_u64 s[6:7], 0
	s_cbranch_scc0 .LBB3_245
.LBB3_162:                              ; =>This Loop Header: Depth=1
                                        ;     Child Loop BB3_165 Depth 2
                                        ;     Child Loop BB3_173 Depth 2
                                        ;     Child Loop BB3_181 Depth 2
                                        ;     Child Loop BB3_189 Depth 2
                                        ;     Child Loop BB3_197 Depth 2
                                        ;     Child Loop BB3_205 Depth 2
                                        ;     Child Loop BB3_213 Depth 2
                                        ;     Child Loop BB3_221 Depth 2
                                        ;     Child Loop BB3_229 Depth 2
                                        ;     Child Loop BB3_238 Depth 2
                                        ;     Child Loop BB3_243 Depth 2
	v_cmp_lt_u64_e64 s[0:1], s[6:7], 56
	v_cmp_gt_u64_e64 s[10:11], s[6:7], 7
	s_and_b64 s[0:1], s[0:1], exec
	s_cselect_b32 s9, s7, 0
	s_cselect_b32 s8, s6, 56
	s_add_u32 s0, s4, 8
	s_addc_u32 s1, s5, 0
	s_and_b64 vcc, exec, s[10:11]
	s_cbranch_vccnz .LBB3_166
; %bb.163:                              ;   in Loop: Header=BB3_162 Depth=1
	s_cmp_eq_u64 s[6:7], 0
	s_cbranch_scc1 .LBB3_167
; %bb.164:                              ;   in Loop: Header=BB3_162 Depth=1
	v_mov_b32_e32 v2, 0
	s_lshl_b64 s[0:1], s[8:9], 3
	s_mov_b64 s[10:11], 0
	v_mov_b32_e32 v3, 0
	s_mov_b64 s[12:13], s[4:5]
.LBB3_165:                              ;   Parent Loop BB3_162 Depth=1
                                        ; =>  This Inner Loop Header: Depth=2
	global_load_ubyte v6, v26, s[12:13]
	s_waitcnt vmcnt(0)
	v_and_b32_e32 v25, 0xffff, v6
	v_lshlrev_b64 v[6:7], s10, v[25:26]
	s_add_u32 s10, s10, 8
	s_addc_u32 s11, s11, 0
	s_add_u32 s12, s12, 1
	s_addc_u32 s13, s13, 0
	v_or_b32_e32 v2, v6, v2
	s_cmp_lg_u32 s0, s10
	v_or_b32_e32 v3, v7, v3
	s_cbranch_scc1 .LBB3_165
	s_branch .LBB3_168
.LBB3_166:                              ;   in Loop: Header=BB3_162 Depth=1
	s_mov_b32 s14, 0
	s_branch .LBB3_169
.LBB3_167:                              ;   in Loop: Header=BB3_162 Depth=1
	v_mov_b32_e32 v2, 0
	v_mov_b32_e32 v3, 0
.LBB3_168:                              ;   in Loop: Header=BB3_162 Depth=1
	s_mov_b64 s[0:1], s[4:5]
	s_mov_b32 s14, 0
	s_cbranch_execnz .LBB3_170
.LBB3_169:                              ;   in Loop: Header=BB3_162 Depth=1
	global_load_dwordx2 v[2:3], v26, s[4:5]
	s_add_i32 s14, s8, -8
.LBB3_170:                              ;   in Loop: Header=BB3_162 Depth=1
	s_add_u32 s10, s0, 8
	s_addc_u32 s11, s1, 0
	s_cmp_gt_u32 s14, 7
	s_cbranch_scc1 .LBB3_174
; %bb.171:                              ;   in Loop: Header=BB3_162 Depth=1
	s_cmp_eq_u32 s14, 0
	s_cbranch_scc1 .LBB3_175
; %bb.172:                              ;   in Loop: Header=BB3_162 Depth=1
	v_mov_b32_e32 v10, 0
	s_mov_b64 s[10:11], 0
	v_mov_b32_e32 v11, 0
	s_mov_b64 s[12:13], 0
.LBB3_173:                              ;   Parent Loop BB3_162 Depth=1
                                        ; =>  This Inner Loop Header: Depth=2
	s_add_u32 s16, s0, s12
	s_addc_u32 s17, s1, s13
	global_load_ubyte v6, v26, s[16:17]
	s_add_u32 s12, s12, 1
	s_addc_u32 s13, s13, 0
	s_waitcnt vmcnt(0)
	v_and_b32_e32 v25, 0xffff, v6
	v_lshlrev_b64 v[6:7], s10, v[25:26]
	s_add_u32 s10, s10, 8
	s_addc_u32 s11, s11, 0
	v_or_b32_e32 v10, v6, v10
	s_cmp_lg_u32 s14, s12
	v_or_b32_e32 v11, v7, v11
	s_cbranch_scc1 .LBB3_173
	s_branch .LBB3_176
.LBB3_174:                              ;   in Loop: Header=BB3_162 Depth=1
                                        ; implicit-def: $vgpr10_vgpr11
	s_mov_b32 s15, 0
	s_branch .LBB3_177
.LBB3_175:                              ;   in Loop: Header=BB3_162 Depth=1
	v_mov_b32_e32 v10, 0
	v_mov_b32_e32 v11, 0
.LBB3_176:                              ;   in Loop: Header=BB3_162 Depth=1
	s_mov_b64 s[10:11], s[0:1]
	s_mov_b32 s15, 0
	s_cbranch_execnz .LBB3_178
.LBB3_177:                              ;   in Loop: Header=BB3_162 Depth=1
	global_load_dwordx2 v[10:11], v26, s[0:1]
	s_add_i32 s15, s14, -8
.LBB3_178:                              ;   in Loop: Header=BB3_162 Depth=1
	s_add_u32 s0, s10, 8
	s_addc_u32 s1, s11, 0
	s_cmp_gt_u32 s15, 7
	s_cbranch_scc1 .LBB3_182
; %bb.179:                              ;   in Loop: Header=BB3_162 Depth=1
	s_cmp_eq_u32 s15, 0
	s_cbranch_scc1 .LBB3_183
; %bb.180:                              ;   in Loop: Header=BB3_162 Depth=1
	v_mov_b32_e32 v12, 0
	s_mov_b64 s[0:1], 0
	v_mov_b32_e32 v13, 0
	s_mov_b64 s[12:13], 0
.LBB3_181:                              ;   Parent Loop BB3_162 Depth=1
                                        ; =>  This Inner Loop Header: Depth=2
	s_add_u32 s16, s10, s12
	s_addc_u32 s17, s11, s13
	global_load_ubyte v6, v26, s[16:17]
	s_add_u32 s12, s12, 1
	s_addc_u32 s13, s13, 0
	s_waitcnt vmcnt(0)
	v_and_b32_e32 v25, 0xffff, v6
	v_lshlrev_b64 v[6:7], s0, v[25:26]
	s_add_u32 s0, s0, 8
	s_addc_u32 s1, s1, 0
	v_or_b32_e32 v12, v6, v12
	s_cmp_lg_u32 s15, s12
	v_or_b32_e32 v13, v7, v13
	s_cbranch_scc1 .LBB3_181
	s_branch .LBB3_184
.LBB3_182:                              ;   in Loop: Header=BB3_162 Depth=1
	s_mov_b32 s14, 0
	s_branch .LBB3_185
.LBB3_183:                              ;   in Loop: Header=BB3_162 Depth=1
	v_mov_b32_e32 v12, 0
	v_mov_b32_e32 v13, 0
.LBB3_184:                              ;   in Loop: Header=BB3_162 Depth=1
	s_mov_b64 s[0:1], s[10:11]
	s_mov_b32 s14, 0
	s_cbranch_execnz .LBB3_186
.LBB3_185:                              ;   in Loop: Header=BB3_162 Depth=1
	global_load_dwordx2 v[12:13], v26, s[10:11]
	s_add_i32 s14, s15, -8
.LBB3_186:                              ;   in Loop: Header=BB3_162 Depth=1
	s_add_u32 s10, s0, 8
	s_addc_u32 s11, s1, 0
	s_cmp_gt_u32 s14, 7
	s_cbranch_scc1 .LBB3_190
; %bb.187:                              ;   in Loop: Header=BB3_162 Depth=1
	s_cmp_eq_u32 s14, 0
	s_cbranch_scc1 .LBB3_191
; %bb.188:                              ;   in Loop: Header=BB3_162 Depth=1
	v_mov_b32_e32 v14, 0
	s_mov_b64 s[10:11], 0
	v_mov_b32_e32 v15, 0
	s_mov_b64 s[12:13], 0
.LBB3_189:                              ;   Parent Loop BB3_162 Depth=1
                                        ; =>  This Inner Loop Header: Depth=2
	s_add_u32 s16, s0, s12
	s_addc_u32 s17, s1, s13
	global_load_ubyte v6, v26, s[16:17]
	s_add_u32 s12, s12, 1
	s_addc_u32 s13, s13, 0
	s_waitcnt vmcnt(0)
	v_and_b32_e32 v25, 0xffff, v6
	v_lshlrev_b64 v[6:7], s10, v[25:26]
	s_add_u32 s10, s10, 8
	s_addc_u32 s11, s11, 0
	v_or_b32_e32 v14, v6, v14
	s_cmp_lg_u32 s14, s12
	v_or_b32_e32 v15, v7, v15
	s_cbranch_scc1 .LBB3_189
	s_branch .LBB3_192
.LBB3_190:                              ;   in Loop: Header=BB3_162 Depth=1
                                        ; implicit-def: $vgpr14_vgpr15
	s_mov_b32 s15, 0
	s_branch .LBB3_193
.LBB3_191:                              ;   in Loop: Header=BB3_162 Depth=1
	v_mov_b32_e32 v14, 0
	v_mov_b32_e32 v15, 0
.LBB3_192:                              ;   in Loop: Header=BB3_162 Depth=1
	s_mov_b64 s[10:11], s[0:1]
	s_mov_b32 s15, 0
	s_cbranch_execnz .LBB3_194
.LBB3_193:                              ;   in Loop: Header=BB3_162 Depth=1
	global_load_dwordx2 v[14:15], v26, s[0:1]
	s_add_i32 s15, s14, -8
.LBB3_194:                              ;   in Loop: Header=BB3_162 Depth=1
	s_add_u32 s0, s10, 8
	s_addc_u32 s1, s11, 0
	s_cmp_gt_u32 s15, 7
	s_cbranch_scc1 .LBB3_198
; %bb.195:                              ;   in Loop: Header=BB3_162 Depth=1
	s_cmp_eq_u32 s15, 0
	s_cbranch_scc1 .LBB3_199
; %bb.196:                              ;   in Loop: Header=BB3_162 Depth=1
	v_mov_b32_e32 v16, 0
	s_mov_b64 s[0:1], 0
	v_mov_b32_e32 v17, 0
	s_mov_b64 s[12:13], 0
.LBB3_197:                              ;   Parent Loop BB3_162 Depth=1
                                        ; =>  This Inner Loop Header: Depth=2
	s_add_u32 s16, s10, s12
	s_addc_u32 s17, s11, s13
	global_load_ubyte v6, v26, s[16:17]
	s_add_u32 s12, s12, 1
	s_addc_u32 s13, s13, 0
	s_waitcnt vmcnt(0)
	v_and_b32_e32 v25, 0xffff, v6
	v_lshlrev_b64 v[6:7], s0, v[25:26]
	s_add_u32 s0, s0, 8
	s_addc_u32 s1, s1, 0
	v_or_b32_e32 v16, v6, v16
	s_cmp_lg_u32 s15, s12
	v_or_b32_e32 v17, v7, v17
	s_cbranch_scc1 .LBB3_197
	s_branch .LBB3_200
.LBB3_198:                              ;   in Loop: Header=BB3_162 Depth=1
	s_mov_b32 s14, 0
	s_branch .LBB3_201
.LBB3_199:                              ;   in Loop: Header=BB3_162 Depth=1
	v_mov_b32_e32 v16, 0
	v_mov_b32_e32 v17, 0
.LBB3_200:                              ;   in Loop: Header=BB3_162 Depth=1
	s_mov_b64 s[0:1], s[10:11]
	s_mov_b32 s14, 0
	s_cbranch_execnz .LBB3_202
.LBB3_201:                              ;   in Loop: Header=BB3_162 Depth=1
	global_load_dwordx2 v[16:17], v26, s[10:11]
	s_add_i32 s14, s15, -8
.LBB3_202:                              ;   in Loop: Header=BB3_162 Depth=1
	s_add_u32 s10, s0, 8
	s_addc_u32 s11, s1, 0
	s_cmp_gt_u32 s14, 7
	s_cbranch_scc1 .LBB3_206
; %bb.203:                              ;   in Loop: Header=BB3_162 Depth=1
	s_cmp_eq_u32 s14, 0
	s_cbranch_scc1 .LBB3_207
; %bb.204:                              ;   in Loop: Header=BB3_162 Depth=1
	v_mov_b32_e32 v18, 0
	s_mov_b64 s[10:11], 0
	v_mov_b32_e32 v19, 0
	s_mov_b64 s[12:13], 0
.LBB3_205:                              ;   Parent Loop BB3_162 Depth=1
                                        ; =>  This Inner Loop Header: Depth=2
	s_add_u32 s16, s0, s12
	s_addc_u32 s17, s1, s13
	global_load_ubyte v6, v26, s[16:17]
	s_add_u32 s12, s12, 1
	s_addc_u32 s13, s13, 0
	s_waitcnt vmcnt(0)
	v_and_b32_e32 v25, 0xffff, v6
	v_lshlrev_b64 v[6:7], s10, v[25:26]
	s_add_u32 s10, s10, 8
	s_addc_u32 s11, s11, 0
	v_or_b32_e32 v18, v6, v18
	s_cmp_lg_u32 s14, s12
	v_or_b32_e32 v19, v7, v19
	s_cbranch_scc1 .LBB3_205
	s_branch .LBB3_208
.LBB3_206:                              ;   in Loop: Header=BB3_162 Depth=1
                                        ; implicit-def: $vgpr18_vgpr19
	s_mov_b32 s15, 0
	s_branch .LBB3_209
.LBB3_207:                              ;   in Loop: Header=BB3_162 Depth=1
	v_mov_b32_e32 v18, 0
	v_mov_b32_e32 v19, 0
.LBB3_208:                              ;   in Loop: Header=BB3_162 Depth=1
	s_mov_b64 s[10:11], s[0:1]
	s_mov_b32 s15, 0
	s_cbranch_execnz .LBB3_210
.LBB3_209:                              ;   in Loop: Header=BB3_162 Depth=1
	global_load_dwordx2 v[18:19], v26, s[0:1]
	s_add_i32 s15, s14, -8
.LBB3_210:                              ;   in Loop: Header=BB3_162 Depth=1
	s_cmp_gt_u32 s15, 7
	s_cbranch_scc1 .LBB3_214
; %bb.211:                              ;   in Loop: Header=BB3_162 Depth=1
	s_cmp_eq_u32 s15, 0
	s_cbranch_scc1 .LBB3_215
; %bb.212:                              ;   in Loop: Header=BB3_162 Depth=1
	v_mov_b32_e32 v20, 0
	s_mov_b64 s[0:1], 0
	v_mov_b32_e32 v21, 0
	s_mov_b64 s[12:13], s[10:11]
.LBB3_213:                              ;   Parent Loop BB3_162 Depth=1
                                        ; =>  This Inner Loop Header: Depth=2
	global_load_ubyte v6, v26, s[12:13]
	s_add_i32 s15, s15, -1
	s_waitcnt vmcnt(0)
	v_and_b32_e32 v25, 0xffff, v6
	v_lshlrev_b64 v[6:7], s0, v[25:26]
	s_add_u32 s0, s0, 8
	s_addc_u32 s1, s1, 0
	s_add_u32 s12, s12, 1
	s_addc_u32 s13, s13, 0
	v_or_b32_e32 v20, v6, v20
	s_cmp_lg_u32 s15, 0
	v_or_b32_e32 v21, v7, v21
	s_cbranch_scc1 .LBB3_213
	s_branch .LBB3_216
.LBB3_214:                              ;   in Loop: Header=BB3_162 Depth=1
	s_branch .LBB3_217
.LBB3_215:                              ;   in Loop: Header=BB3_162 Depth=1
	v_mov_b32_e32 v20, 0
	v_mov_b32_e32 v21, 0
.LBB3_216:                              ;   in Loop: Header=BB3_162 Depth=1
	s_cbranch_execnz .LBB3_218
.LBB3_217:                              ;   in Loop: Header=BB3_162 Depth=1
	global_load_dwordx2 v[20:21], v26, s[10:11]
.LBB3_218:                              ;   in Loop: Header=BB3_162 Depth=1
	v_readfirstlane_b32 s0, v32
	v_mov_b32_e32 v6, 0
	v_mov_b32_e32 v7, 0
	v_cmp_eq_u32_e64 s[0:1], s0, v32
	s_and_saveexec_b64 s[10:11], s[0:1]
	s_cbranch_execz .LBB3_224
; %bb.219:                              ;   in Loop: Header=BB3_162 Depth=1
	global_load_dwordx2 v[24:25], v26, s[2:3] offset:24 glc
	s_waitcnt vmcnt(0)
	buffer_wbinvl1_vol
	global_load_dwordx2 v[6:7], v26, s[2:3] offset:40
	global_load_dwordx2 v[22:23], v26, s[2:3]
	s_waitcnt vmcnt(1)
	v_and_b32_e32 v6, v6, v24
	v_and_b32_e32 v7, v7, v25
	v_mul_lo_u32 v7, v7, 24
	v_mul_hi_u32 v27, v6, 24
	v_mul_lo_u32 v6, v6, 24
	v_add_u32_e32 v7, v27, v7
	s_waitcnt vmcnt(0)
	v_add_co_u32_e32 v6, vcc, v22, v6
	v_addc_co_u32_e32 v7, vcc, v23, v7, vcc
	global_load_dwordx2 v[22:23], v[6:7], off glc
	s_waitcnt vmcnt(0)
	global_atomic_cmpswap_x2 v[6:7], v26, v[22:25], s[2:3] offset:24 glc
	s_waitcnt vmcnt(0)
	buffer_wbinvl1_vol
	v_cmp_ne_u64_e32 vcc, v[6:7], v[24:25]
	s_and_saveexec_b64 s[12:13], vcc
	s_cbranch_execz .LBB3_223
; %bb.220:                              ;   in Loop: Header=BB3_162 Depth=1
	s_mov_b64 s[14:15], 0
.LBB3_221:                              ;   Parent Loop BB3_162 Depth=1
                                        ; =>  This Inner Loop Header: Depth=2
	s_sleep 1
	global_load_dwordx2 v[22:23], v26, s[2:3] offset:40
	global_load_dwordx2 v[27:28], v26, s[2:3]
	v_mov_b32_e32 v25, v7
	v_mov_b32_e32 v24, v6
	s_waitcnt vmcnt(1)
	v_and_b32_e32 v6, v22, v24
	s_waitcnt vmcnt(0)
	v_mad_u64_u32 v[6:7], s[16:17], v6, 24, v[27:28]
	v_and_b32_e32 v22, v23, v25
	v_mad_u64_u32 v[22:23], s[16:17], v22, 24, v[7:8]
	v_mov_b32_e32 v7, v22
	global_load_dwordx2 v[22:23], v[6:7], off glc
	s_waitcnt vmcnt(0)
	global_atomic_cmpswap_x2 v[6:7], v26, v[22:25], s[2:3] offset:24 glc
	s_waitcnt vmcnt(0)
	buffer_wbinvl1_vol
	v_cmp_eq_u64_e32 vcc, v[6:7], v[24:25]
	s_or_b64 s[14:15], vcc, s[14:15]
	s_andn2_b64 exec, exec, s[14:15]
	s_cbranch_execnz .LBB3_221
; %bb.222:                              ;   in Loop: Header=BB3_162 Depth=1
	s_or_b64 exec, exec, s[14:15]
.LBB3_223:                              ;   in Loop: Header=BB3_162 Depth=1
	s_or_b64 exec, exec, s[12:13]
.LBB3_224:                              ;   in Loop: Header=BB3_162 Depth=1
	s_or_b64 exec, exec, s[10:11]
	global_load_dwordx2 v[27:28], v26, s[2:3] offset:40
	global_load_dwordx4 v[22:25], v26, s[2:3]
	v_readfirstlane_b32 s11, v7
	v_readfirstlane_b32 s10, v6
	s_mov_b64 s[12:13], exec
	s_waitcnt vmcnt(1)
	v_readfirstlane_b32 s14, v27
	v_readfirstlane_b32 s15, v28
	s_and_b64 s[14:15], s[14:15], s[10:11]
	s_mul_i32 s16, s15, 24
	s_mul_hi_u32 s17, s14, 24
	s_mul_i32 s18, s14, 24
	s_add_i32 s16, s17, s16
	v_mov_b32_e32 v6, s16
	s_waitcnt vmcnt(0)
	v_add_co_u32_e32 v27, vcc, s18, v22
	v_addc_co_u32_e32 v28, vcc, v23, v6, vcc
	s_and_saveexec_b64 s[16:17], s[0:1]
	s_cbranch_execz .LBB3_226
; %bb.225:                              ;   in Loop: Header=BB3_162 Depth=1
	v_mov_b32_e32 v6, s12
	v_mov_b32_e32 v7, s13
	global_store_dwordx4 v[27:28], v[6:9], off offset:8
.LBB3_226:                              ;   in Loop: Header=BB3_162 Depth=1
	s_or_b64 exec, exec, s[16:17]
	s_lshl_b64 s[12:13], s[14:15], 12
	v_mov_b32_e32 v6, s13
	v_add_co_u32_e32 v24, vcc, s12, v24
	v_addc_co_u32_e32 v30, vcc, v25, v6, vcc
	v_cmp_lt_u64_e64 vcc, s[6:7], 57
	s_lshl_b32 s12, s8, 2
	v_cndmask_b32_e32 v6, 0, v29, vcc
	s_add_i32 s12, s12, 28
	v_and_b32_e32 v0, 0xffffff1f, v0
	s_and_b32 s12, s12, 0x1e0
	v_or_b32_e32 v0, v0, v6
	v_or_b32_e32 v0, s12, v0
	v_readfirstlane_b32 s12, v24
	v_readfirstlane_b32 s13, v30
	s_nop 4
	global_store_dwordx4 v31, v[0:3], s[12:13]
	global_store_dwordx4 v31, v[10:13], s[12:13] offset:16
	global_store_dwordx4 v31, v[14:17], s[12:13] offset:32
	;; [unrolled: 1-line block ×3, first 2 shown]
	s_and_saveexec_b64 s[12:13], s[0:1]
	s_cbranch_execz .LBB3_234
; %bb.227:                              ;   in Loop: Header=BB3_162 Depth=1
	global_load_dwordx2 v[12:13], v26, s[2:3] offset:32 glc
	global_load_dwordx2 v[0:1], v26, s[2:3] offset:40
	v_mov_b32_e32 v10, s10
	v_mov_b32_e32 v11, s11
	s_waitcnt vmcnt(0)
	v_readfirstlane_b32 s14, v0
	v_readfirstlane_b32 s15, v1
	s_and_b64 s[14:15], s[14:15], s[10:11]
	s_mul_i32 s15, s15, 24
	s_mul_hi_u32 s16, s14, 24
	s_mul_i32 s14, s14, 24
	s_add_i32 s15, s16, s15
	v_mov_b32_e32 v0, s15
	v_add_co_u32_e32 v6, vcc, s14, v22
	v_addc_co_u32_e32 v7, vcc, v23, v0, vcc
	global_store_dwordx2 v[6:7], v[12:13], off
	s_waitcnt vmcnt(0)
	global_atomic_cmpswap_x2 v[2:3], v26, v[10:13], s[2:3] offset:32 glc
	s_waitcnt vmcnt(0)
	v_cmp_ne_u64_e32 vcc, v[2:3], v[12:13]
	s_and_saveexec_b64 s[14:15], vcc
	s_cbranch_execz .LBB3_230
; %bb.228:                              ;   in Loop: Header=BB3_162 Depth=1
	s_mov_b64 s[16:17], 0
.LBB3_229:                              ;   Parent Loop BB3_162 Depth=1
                                        ; =>  This Inner Loop Header: Depth=2
	s_sleep 1
	global_store_dwordx2 v[6:7], v[2:3], off
	v_mov_b32_e32 v0, s10
	v_mov_b32_e32 v1, s11
	s_waitcnt vmcnt(0)
	global_atomic_cmpswap_x2 v[0:1], v26, v[0:3], s[2:3] offset:32 glc
	s_waitcnt vmcnt(0)
	v_cmp_eq_u64_e32 vcc, v[0:1], v[2:3]
	v_mov_b32_e32 v3, v1
	s_or_b64 s[16:17], vcc, s[16:17]
	v_mov_b32_e32 v2, v0
	s_andn2_b64 exec, exec, s[16:17]
	s_cbranch_execnz .LBB3_229
.LBB3_230:                              ;   in Loop: Header=BB3_162 Depth=1
	s_or_b64 exec, exec, s[14:15]
	global_load_dwordx2 v[0:1], v26, s[2:3] offset:16
	s_mov_b64 s[16:17], exec
	v_mbcnt_lo_u32_b32 v2, s16, 0
	v_mbcnt_hi_u32_b32 v2, s17, v2
	v_cmp_eq_u32_e32 vcc, 0, v2
	s_and_saveexec_b64 s[14:15], vcc
	s_cbranch_execz .LBB3_232
; %bb.231:                              ;   in Loop: Header=BB3_162 Depth=1
	s_bcnt1_i32_b64 s16, s[16:17]
	v_mov_b32_e32 v25, s16
	s_waitcnt vmcnt(0)
	global_atomic_add_x2 v[0:1], v[25:26], off offset:8
.LBB3_232:                              ;   in Loop: Header=BB3_162 Depth=1
	s_or_b64 exec, exec, s[14:15]
	s_waitcnt vmcnt(0)
	global_load_dwordx2 v[2:3], v[0:1], off offset:16
	s_waitcnt vmcnt(0)
	v_cmp_eq_u64_e32 vcc, 0, v[2:3]
	s_cbranch_vccnz .LBB3_234
; %bb.233:                              ;   in Loop: Header=BB3_162 Depth=1
	global_load_dword v25, v[0:1], off offset:24
	s_waitcnt vmcnt(0)
	v_readfirstlane_b32 s14, v25
	s_and_b32 m0, s14, 0xffffff
	global_store_dwordx2 v[2:3], v[25:26], off
	s_sendmsg sendmsg(MSG_INTERRUPT)
.LBB3_234:                              ;   in Loop: Header=BB3_162 Depth=1
	s_or_b64 exec, exec, s[12:13]
	v_add_co_u32_e32 v0, vcc, v24, v31
	v_addc_co_u32_e32 v1, vcc, 0, v30, vcc
	s_branch .LBB3_238
.LBB3_235:                              ;   in Loop: Header=BB3_238 Depth=2
	s_or_b64 exec, exec, s[12:13]
	v_readfirstlane_b32 s12, v2
	s_cmp_eq_u32 s12, 0
	s_cbranch_scc1 .LBB3_237
; %bb.236:                              ;   in Loop: Header=BB3_238 Depth=2
	s_sleep 1
	s_cbranch_execnz .LBB3_238
	s_branch .LBB3_240
.LBB3_237:                              ;   in Loop: Header=BB3_162 Depth=1
	s_branch .LBB3_240
.LBB3_238:                              ;   Parent Loop BB3_162 Depth=1
                                        ; =>  This Inner Loop Header: Depth=2
	v_mov_b32_e32 v2, 1
	s_and_saveexec_b64 s[12:13], s[0:1]
	s_cbranch_execz .LBB3_235
; %bb.239:                              ;   in Loop: Header=BB3_238 Depth=2
	global_load_dword v2, v[27:28], off offset:20 glc
	s_waitcnt vmcnt(0)
	buffer_wbinvl1_vol
	v_and_b32_e32 v2, 1, v2
	s_branch .LBB3_235
.LBB3_240:                              ;   in Loop: Header=BB3_162 Depth=1
	global_load_dwordx2 v[0:1], v[0:1], off
	s_and_saveexec_b64 s[12:13], s[0:1]
	s_cbranch_execz .LBB3_161
; %bb.241:                              ;   in Loop: Header=BB3_162 Depth=1
	global_load_dwordx2 v[2:3], v26, s[2:3] offset:40
	global_load_dwordx2 v[14:15], v26, s[2:3] offset:24 glc
	global_load_dwordx2 v[6:7], v26, s[2:3]
	s_waitcnt vmcnt(2)
	v_readfirstlane_b32 s14, v2
	v_readfirstlane_b32 s15, v3
	s_add_u32 s16, s14, 1
	s_addc_u32 s17, s15, 0
	s_add_u32 s0, s16, s10
	s_addc_u32 s1, s17, s11
	s_cmp_eq_u64 s[0:1], 0
	s_cselect_b32 s1, s17, s1
	s_cselect_b32 s0, s16, s0
	s_and_b64 s[10:11], s[0:1], s[14:15]
	s_mul_i32 s11, s11, 24
	s_mul_hi_u32 s14, s10, 24
	s_mul_i32 s10, s10, 24
	s_add_i32 s11, s14, s11
	v_mov_b32_e32 v3, s11
	s_waitcnt vmcnt(0)
	v_add_co_u32_e32 v2, vcc, s10, v6
	v_addc_co_u32_e32 v3, vcc, v7, v3, vcc
	v_mov_b32_e32 v12, s0
	global_store_dwordx2 v[2:3], v[14:15], off
	v_mov_b32_e32 v13, s1
	s_waitcnt vmcnt(0)
	global_atomic_cmpswap_x2 v[12:13], v26, v[12:15], s[2:3] offset:24 glc
	s_waitcnt vmcnt(0)
	v_cmp_ne_u64_e32 vcc, v[12:13], v[14:15]
	s_and_b64 exec, exec, vcc
	s_cbranch_execz .LBB3_161
; %bb.242:                              ;   in Loop: Header=BB3_162 Depth=1
	s_mov_b64 s[10:11], 0
.LBB3_243:                              ;   Parent Loop BB3_162 Depth=1
                                        ; =>  This Inner Loop Header: Depth=2
	s_sleep 1
	global_store_dwordx2 v[2:3], v[12:13], off
	v_mov_b32_e32 v10, s0
	v_mov_b32_e32 v11, s1
	s_waitcnt vmcnt(0)
	global_atomic_cmpswap_x2 v[6:7], v26, v[10:13], s[2:3] offset:24 glc
	s_waitcnt vmcnt(0)
	v_cmp_eq_u64_e32 vcc, v[6:7], v[12:13]
	v_mov_b32_e32 v13, v7
	s_or_b64 s[10:11], vcc, s[10:11]
	v_mov_b32_e32 v12, v6
	s_andn2_b64 exec, exec, s[10:11]
	s_cbranch_execnz .LBB3_243
	s_branch .LBB3_161
.LBB3_244:
	s_mov_b64 s[0:1], -1
                                        ; implicit-def: $vgpr0_vgpr1
	s_branch .LBB3_246
.LBB3_245:
	s_mov_b64 s[0:1], 0
.LBB3_246:
	s_and_b64 vcc, exec, s[0:1]
	s_cbranch_vccz .LBB3_273
; %bb.247:
	v_readfirstlane_b32 s0, v32
	v_mov_b32_e32 v7, 0
	v_mov_b32_e32 v8, 0
	v_cmp_eq_u32_e64 s[0:1], s0, v32
	s_and_saveexec_b64 s[4:5], s[0:1]
	s_cbranch_execz .LBB3_253
; %bb.248:
	s_waitcnt vmcnt(0)
	v_mov_b32_e32 v0, 0
	global_load_dwordx2 v[9:10], v0, s[2:3] offset:24 glc
	s_waitcnt vmcnt(0)
	buffer_wbinvl1_vol
	global_load_dwordx2 v[1:2], v0, s[2:3] offset:40
	global_load_dwordx2 v[6:7], v0, s[2:3]
	s_waitcnt vmcnt(1)
	v_and_b32_e32 v1, v1, v9
	v_and_b32_e32 v2, v2, v10
	v_mul_lo_u32 v2, v2, 24
	v_mul_hi_u32 v3, v1, 24
	v_mul_lo_u32 v1, v1, 24
	v_add_u32_e32 v2, v3, v2
	s_waitcnt vmcnt(0)
	v_add_co_u32_e32 v1, vcc, v6, v1
	v_addc_co_u32_e32 v2, vcc, v7, v2, vcc
	global_load_dwordx2 v[7:8], v[1:2], off glc
	s_waitcnt vmcnt(0)
	global_atomic_cmpswap_x2 v[7:8], v0, v[7:10], s[2:3] offset:24 glc
	s_waitcnt vmcnt(0)
	buffer_wbinvl1_vol
	v_cmp_ne_u64_e32 vcc, v[7:8], v[9:10]
	s_and_saveexec_b64 s[6:7], vcc
	s_cbranch_execz .LBB3_252
; %bb.249:
	s_mov_b64 s[8:9], 0
.LBB3_250:                              ; =>This Inner Loop Header: Depth=1
	s_sleep 1
	global_load_dwordx2 v[1:2], v0, s[2:3] offset:40
	global_load_dwordx2 v[11:12], v0, s[2:3]
	v_mov_b32_e32 v10, v8
	v_mov_b32_e32 v9, v7
	s_waitcnt vmcnt(1)
	v_and_b32_e32 v1, v1, v9
	s_waitcnt vmcnt(0)
	v_mad_u64_u32 v[6:7], s[10:11], v1, 24, v[11:12]
	v_and_b32_e32 v2, v2, v10
	v_mov_b32_e32 v1, v7
	v_mad_u64_u32 v[1:2], s[10:11], v2, 24, v[1:2]
	v_mov_b32_e32 v7, v1
	global_load_dwordx2 v[7:8], v[6:7], off glc
	s_waitcnt vmcnt(0)
	global_atomic_cmpswap_x2 v[7:8], v0, v[7:10], s[2:3] offset:24 glc
	s_waitcnt vmcnt(0)
	buffer_wbinvl1_vol
	v_cmp_eq_u64_e32 vcc, v[7:8], v[9:10]
	s_or_b64 s[8:9], vcc, s[8:9]
	s_andn2_b64 exec, exec, s[8:9]
	s_cbranch_execnz .LBB3_250
; %bb.251:
	s_or_b64 exec, exec, s[8:9]
.LBB3_252:
	s_or_b64 exec, exec, s[6:7]
.LBB3_253:
	s_or_b64 exec, exec, s[4:5]
	v_mov_b32_e32 v6, 0
	global_load_dwordx2 v[9:10], v6, s[2:3] offset:40
	global_load_dwordx4 v[0:3], v6, s[2:3]
	v_readfirstlane_b32 s5, v8
	v_readfirstlane_b32 s4, v7
	s_mov_b64 s[6:7], exec
	s_waitcnt vmcnt(1)
	v_readfirstlane_b32 s8, v9
	v_readfirstlane_b32 s9, v10
	s_and_b64 s[8:9], s[8:9], s[4:5]
	s_mul_i32 s10, s9, 24
	s_mul_hi_u32 s11, s8, 24
	s_mul_i32 s12, s8, 24
	s_add_i32 s10, s11, s10
	v_mov_b32_e32 v7, s10
	s_waitcnt vmcnt(0)
	v_add_co_u32_e32 v8, vcc, s12, v0
	v_addc_co_u32_e32 v9, vcc, v1, v7, vcc
	s_and_saveexec_b64 s[10:11], s[0:1]
	s_cbranch_execz .LBB3_255
; %bb.254:
	v_mov_b32_e32 v11, s7
	v_mov_b32_e32 v10, s6
	;; [unrolled: 1-line block ×4, first 2 shown]
	global_store_dwordx4 v[8:9], v[10:13], off offset:8
.LBB3_255:
	s_or_b64 exec, exec, s[10:11]
	s_lshl_b64 s[6:7], s[8:9], 12
	v_mov_b32_e32 v7, s7
	v_add_co_u32_e32 v2, vcc, s6, v2
	v_addc_co_u32_e32 v3, vcc, v3, v7, vcc
	s_movk_i32 s6, 0xff1f
	v_and_or_b32 v4, v4, s6, 32
	v_add_co_u32_e32 v10, vcc, v2, v31
	s_mov_b32 s8, 0
	v_mov_b32_e32 v7, v6
	v_readfirstlane_b32 s6, v2
	v_readfirstlane_b32 s7, v3
	v_addc_co_u32_e32 v11, vcc, 0, v3, vcc
	s_mov_b32 s9, s8
	s_mov_b32 s10, s8
	;; [unrolled: 1-line block ×3, first 2 shown]
	s_nop 0
	global_store_dwordx4 v31, v[4:7], s[6:7]
	v_mov_b32_e32 v2, s8
	v_mov_b32_e32 v3, s9
	;; [unrolled: 1-line block ×4, first 2 shown]
	global_store_dwordx4 v31, v[2:5], s[6:7] offset:16
	global_store_dwordx4 v31, v[2:5], s[6:7] offset:32
	;; [unrolled: 1-line block ×3, first 2 shown]
	s_and_saveexec_b64 s[6:7], s[0:1]
	s_cbranch_execz .LBB3_263
; %bb.256:
	v_mov_b32_e32 v6, 0
	global_load_dwordx2 v[14:15], v6, s[2:3] offset:32 glc
	global_load_dwordx2 v[2:3], v6, s[2:3] offset:40
	v_mov_b32_e32 v12, s4
	v_mov_b32_e32 v13, s5
	s_waitcnt vmcnt(0)
	v_readfirstlane_b32 s8, v2
	v_readfirstlane_b32 s9, v3
	s_and_b64 s[8:9], s[8:9], s[4:5]
	s_mul_i32 s9, s9, 24
	s_mul_hi_u32 s10, s8, 24
	s_mul_i32 s8, s8, 24
	s_add_i32 s9, s10, s9
	v_mov_b32_e32 v2, s9
	v_add_co_u32_e32 v4, vcc, s8, v0
	v_addc_co_u32_e32 v5, vcc, v1, v2, vcc
	global_store_dwordx2 v[4:5], v[14:15], off
	s_waitcnt vmcnt(0)
	global_atomic_cmpswap_x2 v[2:3], v6, v[12:15], s[2:3] offset:32 glc
	s_waitcnt vmcnt(0)
	v_cmp_ne_u64_e32 vcc, v[2:3], v[14:15]
	s_and_saveexec_b64 s[8:9], vcc
	s_cbranch_execz .LBB3_259
; %bb.257:
	s_mov_b64 s[10:11], 0
.LBB3_258:                              ; =>This Inner Loop Header: Depth=1
	s_sleep 1
	global_store_dwordx2 v[4:5], v[2:3], off
	v_mov_b32_e32 v0, s4
	v_mov_b32_e32 v1, s5
	s_waitcnt vmcnt(0)
	global_atomic_cmpswap_x2 v[0:1], v6, v[0:3], s[2:3] offset:32 glc
	s_waitcnt vmcnt(0)
	v_cmp_eq_u64_e32 vcc, v[0:1], v[2:3]
	v_mov_b32_e32 v3, v1
	s_or_b64 s[10:11], vcc, s[10:11]
	v_mov_b32_e32 v2, v0
	s_andn2_b64 exec, exec, s[10:11]
	s_cbranch_execnz .LBB3_258
.LBB3_259:
	s_or_b64 exec, exec, s[8:9]
	v_mov_b32_e32 v3, 0
	global_load_dwordx2 v[0:1], v3, s[2:3] offset:16
	s_mov_b64 s[8:9], exec
	v_mbcnt_lo_u32_b32 v2, s8, 0
	v_mbcnt_hi_u32_b32 v2, s9, v2
	v_cmp_eq_u32_e32 vcc, 0, v2
	s_and_saveexec_b64 s[10:11], vcc
	s_cbranch_execz .LBB3_261
; %bb.260:
	s_bcnt1_i32_b64 s8, s[8:9]
	v_mov_b32_e32 v2, s8
	s_waitcnt vmcnt(0)
	global_atomic_add_x2 v[0:1], v[2:3], off offset:8
.LBB3_261:
	s_or_b64 exec, exec, s[10:11]
	s_waitcnt vmcnt(0)
	global_load_dwordx2 v[2:3], v[0:1], off offset:16
	s_waitcnt vmcnt(0)
	v_cmp_eq_u64_e32 vcc, 0, v[2:3]
	s_cbranch_vccnz .LBB3_263
; %bb.262:
	global_load_dword v0, v[0:1], off offset:24
	v_mov_b32_e32 v1, 0
	s_waitcnt vmcnt(0)
	v_readfirstlane_b32 s8, v0
	s_and_b32 m0, s8, 0xffffff
	global_store_dwordx2 v[2:3], v[0:1], off
	s_sendmsg sendmsg(MSG_INTERRUPT)
.LBB3_263:
	s_or_b64 exec, exec, s[6:7]
	s_branch .LBB3_267
.LBB3_264:                              ;   in Loop: Header=BB3_267 Depth=1
	s_or_b64 exec, exec, s[6:7]
	v_readfirstlane_b32 s6, v0
	s_cmp_eq_u32 s6, 0
	s_cbranch_scc1 .LBB3_266
; %bb.265:                              ;   in Loop: Header=BB3_267 Depth=1
	s_sleep 1
	s_cbranch_execnz .LBB3_267
	s_branch .LBB3_269
.LBB3_266:
	s_branch .LBB3_269
.LBB3_267:                              ; =>This Inner Loop Header: Depth=1
	v_mov_b32_e32 v0, 1
	s_and_saveexec_b64 s[6:7], s[0:1]
	s_cbranch_execz .LBB3_264
; %bb.268:                              ;   in Loop: Header=BB3_267 Depth=1
	global_load_dword v0, v[8:9], off offset:20 glc
	s_waitcnt vmcnt(0)
	buffer_wbinvl1_vol
	v_and_b32_e32 v0, 1, v0
	s_branch .LBB3_264
.LBB3_269:
	global_load_dwordx2 v[0:1], v[10:11], off
	s_and_saveexec_b64 s[6:7], s[0:1]
	s_cbranch_execz .LBB3_272
; %bb.270:
	v_mov_b32_e32 v8, 0
	global_load_dwordx2 v[2:3], v8, s[2:3] offset:40
	global_load_dwordx2 v[11:12], v8, s[2:3] offset:24 glc
	global_load_dwordx2 v[4:5], v8, s[2:3]
	s_waitcnt vmcnt(2)
	v_readfirstlane_b32 s8, v2
	v_readfirstlane_b32 s9, v3
	s_add_u32 s10, s8, 1
	s_addc_u32 s11, s9, 0
	s_add_u32 s0, s10, s4
	s_addc_u32 s1, s11, s5
	s_cmp_eq_u64 s[0:1], 0
	s_cselect_b32 s1, s11, s1
	s_cselect_b32 s0, s10, s0
	s_and_b64 s[4:5], s[0:1], s[8:9]
	s_mul_i32 s5, s5, 24
	s_mul_hi_u32 s8, s4, 24
	s_mul_i32 s4, s4, 24
	s_add_i32 s5, s8, s5
	v_mov_b32_e32 v2, s5
	s_waitcnt vmcnt(0)
	v_add_co_u32_e32 v6, vcc, s4, v4
	v_addc_co_u32_e32 v7, vcc, v5, v2, vcc
	v_mov_b32_e32 v9, s0
	global_store_dwordx2 v[6:7], v[11:12], off
	v_mov_b32_e32 v10, s1
	s_waitcnt vmcnt(0)
	global_atomic_cmpswap_x2 v[4:5], v8, v[9:12], s[2:3] offset:24 glc
	s_mov_b64 s[4:5], 0
	s_waitcnt vmcnt(0)
	v_cmp_ne_u64_e32 vcc, v[4:5], v[11:12]
	s_and_b64 exec, exec, vcc
	s_cbranch_execz .LBB3_272
.LBB3_271:                              ; =>This Inner Loop Header: Depth=1
	s_sleep 1
	global_store_dwordx2 v[6:7], v[4:5], off
	v_mov_b32_e32 v2, s0
	v_mov_b32_e32 v3, s1
	s_waitcnt vmcnt(0)
	global_atomic_cmpswap_x2 v[2:3], v8, v[2:5], s[2:3] offset:24 glc
	s_waitcnt vmcnt(0)
	v_cmp_eq_u64_e32 vcc, v[2:3], v[4:5]
	v_mov_b32_e32 v5, v3
	s_or_b64 s[4:5], vcc, s[4:5]
	v_mov_b32_e32 v4, v2
	s_andn2_b64 exec, exec, s[4:5]
	s_cbranch_execnz .LBB3_271
.LBB3_272:
	s_or_b64 exec, exec, s[6:7]
.LBB3_273:
	s_getpc_b64 s[4:5]
	s_add_u32 s4, s4, __FUNCTION__._ZN9rocsparseL38csr2csr_compress_use_warp_start_deviceILj256ELj32ELj2EfEEvi21rocsparse_index_base_PKT2_PKiS1_PS2_PiPKjS2_@rel32@lo+4
	s_addc_u32 s5, s5, __FUNCTION__._ZN9rocsparseL38csr2csr_compress_use_warp_start_deviceILj256ELj32ELj2EfEEvi21rocsparse_index_base_PKT2_PKiS1_PS2_PiPKjS2_@rel32@hi+12
	s_cmp_lg_u64 s[4:5], 0
	s_cbranch_scc0 .LBB3_358
; %bb.274:
	s_waitcnt vmcnt(0)
	v_and_b32_e32 v29, 2, v0
	v_mov_b32_e32 v26, 0
	v_and_b32_e32 v2, -3, v0
	v_mov_b32_e32 v3, v1
	s_mov_b64 s[6:7], 39
	v_mov_b32_e32 v8, 2
	v_mov_b32_e32 v9, 1
	s_branch .LBB3_276
.LBB3_275:                              ;   in Loop: Header=BB3_276 Depth=1
	s_or_b64 exec, exec, s[12:13]
	s_sub_u32 s6, s6, s8
	s_subb_u32 s7, s7, s9
	s_add_u32 s4, s4, s8
	s_addc_u32 s5, s5, s9
	s_cmp_lg_u64 s[6:7], 0
	s_cbranch_scc0 .LBB3_359
.LBB3_276:                              ; =>This Loop Header: Depth=1
                                        ;     Child Loop BB3_279 Depth 2
                                        ;     Child Loop BB3_287 Depth 2
	;; [unrolled: 1-line block ×11, first 2 shown]
	v_cmp_lt_u64_e64 s[0:1], s[6:7], 56
	v_cmp_gt_u64_e64 s[10:11], s[6:7], 7
	s_and_b64 s[0:1], s[0:1], exec
	s_cselect_b32 s9, s7, 0
	s_cselect_b32 s8, s6, 56
	s_add_u32 s0, s4, 8
	s_addc_u32 s1, s5, 0
	s_and_b64 vcc, exec, s[10:11]
	s_cbranch_vccnz .LBB3_280
; %bb.277:                              ;   in Loop: Header=BB3_276 Depth=1
	s_cmp_eq_u64 s[6:7], 0
	s_cbranch_scc1 .LBB3_281
; %bb.278:                              ;   in Loop: Header=BB3_276 Depth=1
	v_mov_b32_e32 v4, 0
	s_lshl_b64 s[0:1], s[8:9], 3
	s_mov_b64 s[10:11], 0
	v_mov_b32_e32 v5, 0
	s_mov_b64 s[12:13], s[4:5]
.LBB3_279:                              ;   Parent Loop BB3_276 Depth=1
                                        ; =>  This Inner Loop Header: Depth=2
	global_load_ubyte v6, v26, s[12:13]
	s_waitcnt vmcnt(0)
	v_and_b32_e32 v25, 0xffff, v6
	v_lshlrev_b64 v[6:7], s10, v[25:26]
	s_add_u32 s10, s10, 8
	s_addc_u32 s11, s11, 0
	s_add_u32 s12, s12, 1
	s_addc_u32 s13, s13, 0
	v_or_b32_e32 v4, v6, v4
	s_cmp_lg_u32 s0, s10
	v_or_b32_e32 v5, v7, v5
	s_cbranch_scc1 .LBB3_279
	s_branch .LBB3_282
.LBB3_280:                              ;   in Loop: Header=BB3_276 Depth=1
	s_mov_b32 s14, 0
	s_branch .LBB3_283
.LBB3_281:                              ;   in Loop: Header=BB3_276 Depth=1
	v_mov_b32_e32 v4, 0
	v_mov_b32_e32 v5, 0
.LBB3_282:                              ;   in Loop: Header=BB3_276 Depth=1
	s_mov_b64 s[0:1], s[4:5]
	s_mov_b32 s14, 0
	s_cbranch_execnz .LBB3_284
.LBB3_283:                              ;   in Loop: Header=BB3_276 Depth=1
	global_load_dwordx2 v[4:5], v26, s[4:5]
	s_add_i32 s14, s8, -8
.LBB3_284:                              ;   in Loop: Header=BB3_276 Depth=1
	s_add_u32 s10, s0, 8
	s_addc_u32 s11, s1, 0
	s_cmp_gt_u32 s14, 7
	s_cbranch_scc1 .LBB3_288
; %bb.285:                              ;   in Loop: Header=BB3_276 Depth=1
	s_cmp_eq_u32 s14, 0
	s_cbranch_scc1 .LBB3_289
; %bb.286:                              ;   in Loop: Header=BB3_276 Depth=1
	v_mov_b32_e32 v10, 0
	s_mov_b64 s[10:11], 0
	v_mov_b32_e32 v11, 0
	s_mov_b64 s[12:13], 0
.LBB3_287:                              ;   Parent Loop BB3_276 Depth=1
                                        ; =>  This Inner Loop Header: Depth=2
	s_add_u32 s16, s0, s12
	s_addc_u32 s17, s1, s13
	global_load_ubyte v6, v26, s[16:17]
	s_add_u32 s12, s12, 1
	s_addc_u32 s13, s13, 0
	s_waitcnt vmcnt(0)
	v_and_b32_e32 v25, 0xffff, v6
	v_lshlrev_b64 v[6:7], s10, v[25:26]
	s_add_u32 s10, s10, 8
	s_addc_u32 s11, s11, 0
	v_or_b32_e32 v10, v6, v10
	s_cmp_lg_u32 s14, s12
	v_or_b32_e32 v11, v7, v11
	s_cbranch_scc1 .LBB3_287
	s_branch .LBB3_290
.LBB3_288:                              ;   in Loop: Header=BB3_276 Depth=1
                                        ; implicit-def: $vgpr10_vgpr11
	s_mov_b32 s15, 0
	s_branch .LBB3_291
.LBB3_289:                              ;   in Loop: Header=BB3_276 Depth=1
	v_mov_b32_e32 v10, 0
	v_mov_b32_e32 v11, 0
.LBB3_290:                              ;   in Loop: Header=BB3_276 Depth=1
	s_mov_b64 s[10:11], s[0:1]
	s_mov_b32 s15, 0
	s_cbranch_execnz .LBB3_292
.LBB3_291:                              ;   in Loop: Header=BB3_276 Depth=1
	global_load_dwordx2 v[10:11], v26, s[0:1]
	s_add_i32 s15, s14, -8
.LBB3_292:                              ;   in Loop: Header=BB3_276 Depth=1
	s_add_u32 s0, s10, 8
	s_addc_u32 s1, s11, 0
	s_cmp_gt_u32 s15, 7
	s_cbranch_scc1 .LBB3_296
; %bb.293:                              ;   in Loop: Header=BB3_276 Depth=1
	s_cmp_eq_u32 s15, 0
	s_cbranch_scc1 .LBB3_297
; %bb.294:                              ;   in Loop: Header=BB3_276 Depth=1
	v_mov_b32_e32 v12, 0
	s_mov_b64 s[0:1], 0
	v_mov_b32_e32 v13, 0
	s_mov_b64 s[12:13], 0
.LBB3_295:                              ;   Parent Loop BB3_276 Depth=1
                                        ; =>  This Inner Loop Header: Depth=2
	s_add_u32 s16, s10, s12
	s_addc_u32 s17, s11, s13
	global_load_ubyte v6, v26, s[16:17]
	s_add_u32 s12, s12, 1
	s_addc_u32 s13, s13, 0
	s_waitcnt vmcnt(0)
	v_and_b32_e32 v25, 0xffff, v6
	v_lshlrev_b64 v[6:7], s0, v[25:26]
	s_add_u32 s0, s0, 8
	s_addc_u32 s1, s1, 0
	v_or_b32_e32 v12, v6, v12
	s_cmp_lg_u32 s15, s12
	v_or_b32_e32 v13, v7, v13
	s_cbranch_scc1 .LBB3_295
	s_branch .LBB3_298
.LBB3_296:                              ;   in Loop: Header=BB3_276 Depth=1
	s_mov_b32 s14, 0
	s_branch .LBB3_299
.LBB3_297:                              ;   in Loop: Header=BB3_276 Depth=1
	v_mov_b32_e32 v12, 0
	v_mov_b32_e32 v13, 0
.LBB3_298:                              ;   in Loop: Header=BB3_276 Depth=1
	s_mov_b64 s[0:1], s[10:11]
	s_mov_b32 s14, 0
	s_cbranch_execnz .LBB3_300
.LBB3_299:                              ;   in Loop: Header=BB3_276 Depth=1
	global_load_dwordx2 v[12:13], v26, s[10:11]
	s_add_i32 s14, s15, -8
.LBB3_300:                              ;   in Loop: Header=BB3_276 Depth=1
	s_add_u32 s10, s0, 8
	s_addc_u32 s11, s1, 0
	s_cmp_gt_u32 s14, 7
	s_cbranch_scc1 .LBB3_304
; %bb.301:                              ;   in Loop: Header=BB3_276 Depth=1
	s_cmp_eq_u32 s14, 0
	s_cbranch_scc1 .LBB3_305
; %bb.302:                              ;   in Loop: Header=BB3_276 Depth=1
	v_mov_b32_e32 v14, 0
	s_mov_b64 s[10:11], 0
	v_mov_b32_e32 v15, 0
	s_mov_b64 s[12:13], 0
.LBB3_303:                              ;   Parent Loop BB3_276 Depth=1
                                        ; =>  This Inner Loop Header: Depth=2
	s_add_u32 s16, s0, s12
	s_addc_u32 s17, s1, s13
	global_load_ubyte v6, v26, s[16:17]
	s_add_u32 s12, s12, 1
	s_addc_u32 s13, s13, 0
	s_waitcnt vmcnt(0)
	v_and_b32_e32 v25, 0xffff, v6
	v_lshlrev_b64 v[6:7], s10, v[25:26]
	s_add_u32 s10, s10, 8
	s_addc_u32 s11, s11, 0
	v_or_b32_e32 v14, v6, v14
	s_cmp_lg_u32 s14, s12
	v_or_b32_e32 v15, v7, v15
	s_cbranch_scc1 .LBB3_303
	s_branch .LBB3_306
.LBB3_304:                              ;   in Loop: Header=BB3_276 Depth=1
                                        ; implicit-def: $vgpr14_vgpr15
	s_mov_b32 s15, 0
	s_branch .LBB3_307
.LBB3_305:                              ;   in Loop: Header=BB3_276 Depth=1
	v_mov_b32_e32 v14, 0
	v_mov_b32_e32 v15, 0
.LBB3_306:                              ;   in Loop: Header=BB3_276 Depth=1
	s_mov_b64 s[10:11], s[0:1]
	s_mov_b32 s15, 0
	s_cbranch_execnz .LBB3_308
.LBB3_307:                              ;   in Loop: Header=BB3_276 Depth=1
	global_load_dwordx2 v[14:15], v26, s[0:1]
	s_add_i32 s15, s14, -8
.LBB3_308:                              ;   in Loop: Header=BB3_276 Depth=1
	s_add_u32 s0, s10, 8
	s_addc_u32 s1, s11, 0
	s_cmp_gt_u32 s15, 7
	s_cbranch_scc1 .LBB3_312
; %bb.309:                              ;   in Loop: Header=BB3_276 Depth=1
	s_cmp_eq_u32 s15, 0
	s_cbranch_scc1 .LBB3_313
; %bb.310:                              ;   in Loop: Header=BB3_276 Depth=1
	v_mov_b32_e32 v16, 0
	s_mov_b64 s[0:1], 0
	v_mov_b32_e32 v17, 0
	s_mov_b64 s[12:13], 0
.LBB3_311:                              ;   Parent Loop BB3_276 Depth=1
                                        ; =>  This Inner Loop Header: Depth=2
	s_add_u32 s16, s10, s12
	s_addc_u32 s17, s11, s13
	global_load_ubyte v6, v26, s[16:17]
	s_add_u32 s12, s12, 1
	s_addc_u32 s13, s13, 0
	s_waitcnt vmcnt(0)
	v_and_b32_e32 v25, 0xffff, v6
	v_lshlrev_b64 v[6:7], s0, v[25:26]
	s_add_u32 s0, s0, 8
	s_addc_u32 s1, s1, 0
	v_or_b32_e32 v16, v6, v16
	s_cmp_lg_u32 s15, s12
	v_or_b32_e32 v17, v7, v17
	s_cbranch_scc1 .LBB3_311
	s_branch .LBB3_314
.LBB3_312:                              ;   in Loop: Header=BB3_276 Depth=1
	s_mov_b32 s14, 0
	s_branch .LBB3_315
.LBB3_313:                              ;   in Loop: Header=BB3_276 Depth=1
	v_mov_b32_e32 v16, 0
	v_mov_b32_e32 v17, 0
.LBB3_314:                              ;   in Loop: Header=BB3_276 Depth=1
	s_mov_b64 s[0:1], s[10:11]
	s_mov_b32 s14, 0
	s_cbranch_execnz .LBB3_316
.LBB3_315:                              ;   in Loop: Header=BB3_276 Depth=1
	global_load_dwordx2 v[16:17], v26, s[10:11]
	s_add_i32 s14, s15, -8
.LBB3_316:                              ;   in Loop: Header=BB3_276 Depth=1
	s_add_u32 s10, s0, 8
	s_addc_u32 s11, s1, 0
	s_cmp_gt_u32 s14, 7
	s_cbranch_scc1 .LBB3_320
; %bb.317:                              ;   in Loop: Header=BB3_276 Depth=1
	s_cmp_eq_u32 s14, 0
	s_cbranch_scc1 .LBB3_321
; %bb.318:                              ;   in Loop: Header=BB3_276 Depth=1
	v_mov_b32_e32 v18, 0
	s_mov_b64 s[10:11], 0
	v_mov_b32_e32 v19, 0
	s_mov_b64 s[12:13], 0
.LBB3_319:                              ;   Parent Loop BB3_276 Depth=1
                                        ; =>  This Inner Loop Header: Depth=2
	s_add_u32 s16, s0, s12
	s_addc_u32 s17, s1, s13
	global_load_ubyte v6, v26, s[16:17]
	s_add_u32 s12, s12, 1
	s_addc_u32 s13, s13, 0
	s_waitcnt vmcnt(0)
	v_and_b32_e32 v25, 0xffff, v6
	v_lshlrev_b64 v[6:7], s10, v[25:26]
	s_add_u32 s10, s10, 8
	s_addc_u32 s11, s11, 0
	v_or_b32_e32 v18, v6, v18
	s_cmp_lg_u32 s14, s12
	v_or_b32_e32 v19, v7, v19
	s_cbranch_scc1 .LBB3_319
	s_branch .LBB3_322
.LBB3_320:                              ;   in Loop: Header=BB3_276 Depth=1
                                        ; implicit-def: $vgpr18_vgpr19
	s_mov_b32 s15, 0
	s_branch .LBB3_323
.LBB3_321:                              ;   in Loop: Header=BB3_276 Depth=1
	v_mov_b32_e32 v18, 0
	v_mov_b32_e32 v19, 0
.LBB3_322:                              ;   in Loop: Header=BB3_276 Depth=1
	s_mov_b64 s[10:11], s[0:1]
	s_mov_b32 s15, 0
	s_cbranch_execnz .LBB3_324
.LBB3_323:                              ;   in Loop: Header=BB3_276 Depth=1
	global_load_dwordx2 v[18:19], v26, s[0:1]
	s_add_i32 s15, s14, -8
.LBB3_324:                              ;   in Loop: Header=BB3_276 Depth=1
	s_cmp_gt_u32 s15, 7
	s_cbranch_scc1 .LBB3_328
; %bb.325:                              ;   in Loop: Header=BB3_276 Depth=1
	s_cmp_eq_u32 s15, 0
	s_cbranch_scc1 .LBB3_329
; %bb.326:                              ;   in Loop: Header=BB3_276 Depth=1
	v_mov_b32_e32 v20, 0
	s_mov_b64 s[0:1], 0
	v_mov_b32_e32 v21, 0
	s_mov_b64 s[12:13], s[10:11]
.LBB3_327:                              ;   Parent Loop BB3_276 Depth=1
                                        ; =>  This Inner Loop Header: Depth=2
	global_load_ubyte v6, v26, s[12:13]
	s_add_i32 s15, s15, -1
	s_waitcnt vmcnt(0)
	v_and_b32_e32 v25, 0xffff, v6
	v_lshlrev_b64 v[6:7], s0, v[25:26]
	s_add_u32 s0, s0, 8
	s_addc_u32 s1, s1, 0
	s_add_u32 s12, s12, 1
	s_addc_u32 s13, s13, 0
	v_or_b32_e32 v20, v6, v20
	s_cmp_lg_u32 s15, 0
	v_or_b32_e32 v21, v7, v21
	s_cbranch_scc1 .LBB3_327
	s_branch .LBB3_330
.LBB3_328:                              ;   in Loop: Header=BB3_276 Depth=1
	s_branch .LBB3_331
.LBB3_329:                              ;   in Loop: Header=BB3_276 Depth=1
	v_mov_b32_e32 v20, 0
	v_mov_b32_e32 v21, 0
.LBB3_330:                              ;   in Loop: Header=BB3_276 Depth=1
	s_cbranch_execnz .LBB3_332
.LBB3_331:                              ;   in Loop: Header=BB3_276 Depth=1
	global_load_dwordx2 v[20:21], v26, s[10:11]
.LBB3_332:                              ;   in Loop: Header=BB3_276 Depth=1
	v_readfirstlane_b32 s0, v32
	v_mov_b32_e32 v6, 0
	v_mov_b32_e32 v7, 0
	v_cmp_eq_u32_e64 s[0:1], s0, v32
	s_and_saveexec_b64 s[10:11], s[0:1]
	s_cbranch_execz .LBB3_338
; %bb.333:                              ;   in Loop: Header=BB3_276 Depth=1
	global_load_dwordx2 v[24:25], v26, s[2:3] offset:24 glc
	s_waitcnt vmcnt(0)
	buffer_wbinvl1_vol
	global_load_dwordx2 v[6:7], v26, s[2:3] offset:40
	global_load_dwordx2 v[22:23], v26, s[2:3]
	s_waitcnt vmcnt(1)
	v_and_b32_e32 v6, v6, v24
	v_and_b32_e32 v7, v7, v25
	v_mul_lo_u32 v7, v7, 24
	v_mul_hi_u32 v27, v6, 24
	v_mul_lo_u32 v6, v6, 24
	v_add_u32_e32 v7, v27, v7
	s_waitcnt vmcnt(0)
	v_add_co_u32_e32 v6, vcc, v22, v6
	v_addc_co_u32_e32 v7, vcc, v23, v7, vcc
	global_load_dwordx2 v[22:23], v[6:7], off glc
	s_waitcnt vmcnt(0)
	global_atomic_cmpswap_x2 v[6:7], v26, v[22:25], s[2:3] offset:24 glc
	s_waitcnt vmcnt(0)
	buffer_wbinvl1_vol
	v_cmp_ne_u64_e32 vcc, v[6:7], v[24:25]
	s_and_saveexec_b64 s[12:13], vcc
	s_cbranch_execz .LBB3_337
; %bb.334:                              ;   in Loop: Header=BB3_276 Depth=1
	s_mov_b64 s[14:15], 0
.LBB3_335:                              ;   Parent Loop BB3_276 Depth=1
                                        ; =>  This Inner Loop Header: Depth=2
	s_sleep 1
	global_load_dwordx2 v[22:23], v26, s[2:3] offset:40
	global_load_dwordx2 v[27:28], v26, s[2:3]
	v_mov_b32_e32 v25, v7
	v_mov_b32_e32 v24, v6
	s_waitcnt vmcnt(1)
	v_and_b32_e32 v6, v22, v24
	s_waitcnt vmcnt(0)
	v_mad_u64_u32 v[6:7], s[16:17], v6, 24, v[27:28]
	v_and_b32_e32 v22, v23, v25
	v_mad_u64_u32 v[22:23], s[16:17], v22, 24, v[7:8]
	v_mov_b32_e32 v7, v22
	global_load_dwordx2 v[22:23], v[6:7], off glc
	s_waitcnt vmcnt(0)
	global_atomic_cmpswap_x2 v[6:7], v26, v[22:25], s[2:3] offset:24 glc
	s_waitcnt vmcnt(0)
	buffer_wbinvl1_vol
	v_cmp_eq_u64_e32 vcc, v[6:7], v[24:25]
	s_or_b64 s[14:15], vcc, s[14:15]
	s_andn2_b64 exec, exec, s[14:15]
	s_cbranch_execnz .LBB3_335
; %bb.336:                              ;   in Loop: Header=BB3_276 Depth=1
	s_or_b64 exec, exec, s[14:15]
.LBB3_337:                              ;   in Loop: Header=BB3_276 Depth=1
	s_or_b64 exec, exec, s[12:13]
.LBB3_338:                              ;   in Loop: Header=BB3_276 Depth=1
	s_or_b64 exec, exec, s[10:11]
	global_load_dwordx2 v[27:28], v26, s[2:3] offset:40
	global_load_dwordx4 v[22:25], v26, s[2:3]
	v_readfirstlane_b32 s11, v7
	v_readfirstlane_b32 s10, v6
	s_mov_b64 s[12:13], exec
	s_waitcnt vmcnt(1)
	v_readfirstlane_b32 s14, v27
	v_readfirstlane_b32 s15, v28
	s_and_b64 s[14:15], s[14:15], s[10:11]
	s_mul_i32 s16, s15, 24
	s_mul_hi_u32 s17, s14, 24
	s_mul_i32 s18, s14, 24
	s_add_i32 s16, s17, s16
	v_mov_b32_e32 v6, s16
	s_waitcnt vmcnt(0)
	v_add_co_u32_e32 v27, vcc, s18, v22
	v_addc_co_u32_e32 v28, vcc, v23, v6, vcc
	s_and_saveexec_b64 s[16:17], s[0:1]
	s_cbranch_execz .LBB3_340
; %bb.339:                              ;   in Loop: Header=BB3_276 Depth=1
	v_mov_b32_e32 v6, s12
	v_mov_b32_e32 v7, s13
	global_store_dwordx4 v[27:28], v[6:9], off offset:8
.LBB3_340:                              ;   in Loop: Header=BB3_276 Depth=1
	s_or_b64 exec, exec, s[16:17]
	s_lshl_b64 s[12:13], s[14:15], 12
	v_mov_b32_e32 v6, s13
	v_add_co_u32_e32 v24, vcc, s12, v24
	v_addc_co_u32_e32 v30, vcc, v25, v6, vcc
	v_cmp_lt_u64_e64 vcc, s[6:7], 57
	s_lshl_b32 s12, s8, 2
	v_cndmask_b32_e32 v6, 0, v29, vcc
	s_add_i32 s12, s12, 28
	v_and_b32_e32 v2, 0xffffff1f, v2
	s_and_b32 s12, s12, 0x1e0
	v_or_b32_e32 v2, v2, v6
	v_or_b32_e32 v2, s12, v2
	v_readfirstlane_b32 s12, v24
	v_readfirstlane_b32 s13, v30
	s_nop 4
	global_store_dwordx4 v31, v[2:5], s[12:13]
	global_store_dwordx4 v31, v[10:13], s[12:13] offset:16
	global_store_dwordx4 v31, v[14:17], s[12:13] offset:32
	;; [unrolled: 1-line block ×3, first 2 shown]
	s_and_saveexec_b64 s[12:13], s[0:1]
	s_cbranch_execz .LBB3_348
; %bb.341:                              ;   in Loop: Header=BB3_276 Depth=1
	global_load_dwordx2 v[12:13], v26, s[2:3] offset:32 glc
	global_load_dwordx2 v[2:3], v26, s[2:3] offset:40
	v_mov_b32_e32 v10, s10
	v_mov_b32_e32 v11, s11
	s_waitcnt vmcnt(0)
	v_readfirstlane_b32 s14, v2
	v_readfirstlane_b32 s15, v3
	s_and_b64 s[14:15], s[14:15], s[10:11]
	s_mul_i32 s15, s15, 24
	s_mul_hi_u32 s16, s14, 24
	s_mul_i32 s14, s14, 24
	s_add_i32 s15, s16, s15
	v_mov_b32_e32 v2, s15
	v_add_co_u32_e32 v6, vcc, s14, v22
	v_addc_co_u32_e32 v7, vcc, v23, v2, vcc
	global_store_dwordx2 v[6:7], v[12:13], off
	s_waitcnt vmcnt(0)
	global_atomic_cmpswap_x2 v[4:5], v26, v[10:13], s[2:3] offset:32 glc
	s_waitcnt vmcnt(0)
	v_cmp_ne_u64_e32 vcc, v[4:5], v[12:13]
	s_and_saveexec_b64 s[14:15], vcc
	s_cbranch_execz .LBB3_344
; %bb.342:                              ;   in Loop: Header=BB3_276 Depth=1
	s_mov_b64 s[16:17], 0
.LBB3_343:                              ;   Parent Loop BB3_276 Depth=1
                                        ; =>  This Inner Loop Header: Depth=2
	s_sleep 1
	global_store_dwordx2 v[6:7], v[4:5], off
	v_mov_b32_e32 v2, s10
	v_mov_b32_e32 v3, s11
	s_waitcnt vmcnt(0)
	global_atomic_cmpswap_x2 v[2:3], v26, v[2:5], s[2:3] offset:32 glc
	s_waitcnt vmcnt(0)
	v_cmp_eq_u64_e32 vcc, v[2:3], v[4:5]
	v_mov_b32_e32 v5, v3
	s_or_b64 s[16:17], vcc, s[16:17]
	v_mov_b32_e32 v4, v2
	s_andn2_b64 exec, exec, s[16:17]
	s_cbranch_execnz .LBB3_343
.LBB3_344:                              ;   in Loop: Header=BB3_276 Depth=1
	s_or_b64 exec, exec, s[14:15]
	global_load_dwordx2 v[2:3], v26, s[2:3] offset:16
	s_mov_b64 s[16:17], exec
	v_mbcnt_lo_u32_b32 v4, s16, 0
	v_mbcnt_hi_u32_b32 v4, s17, v4
	v_cmp_eq_u32_e32 vcc, 0, v4
	s_and_saveexec_b64 s[14:15], vcc
	s_cbranch_execz .LBB3_346
; %bb.345:                              ;   in Loop: Header=BB3_276 Depth=1
	s_bcnt1_i32_b64 s16, s[16:17]
	v_mov_b32_e32 v25, s16
	s_waitcnt vmcnt(0)
	global_atomic_add_x2 v[2:3], v[25:26], off offset:8
.LBB3_346:                              ;   in Loop: Header=BB3_276 Depth=1
	s_or_b64 exec, exec, s[14:15]
	s_waitcnt vmcnt(0)
	global_load_dwordx2 v[4:5], v[2:3], off offset:16
	s_waitcnt vmcnt(0)
	v_cmp_eq_u64_e32 vcc, 0, v[4:5]
	s_cbranch_vccnz .LBB3_348
; %bb.347:                              ;   in Loop: Header=BB3_276 Depth=1
	global_load_dword v25, v[2:3], off offset:24
	s_waitcnt vmcnt(0)
	v_readfirstlane_b32 s14, v25
	s_and_b32 m0, s14, 0xffffff
	global_store_dwordx2 v[4:5], v[25:26], off
	s_sendmsg sendmsg(MSG_INTERRUPT)
.LBB3_348:                              ;   in Loop: Header=BB3_276 Depth=1
	s_or_b64 exec, exec, s[12:13]
	v_add_co_u32_e32 v2, vcc, v24, v31
	v_addc_co_u32_e32 v3, vcc, 0, v30, vcc
	s_branch .LBB3_352
.LBB3_349:                              ;   in Loop: Header=BB3_352 Depth=2
	s_or_b64 exec, exec, s[12:13]
	v_readfirstlane_b32 s12, v4
	s_cmp_eq_u32 s12, 0
	s_cbranch_scc1 .LBB3_351
; %bb.350:                              ;   in Loop: Header=BB3_352 Depth=2
	s_sleep 1
	s_cbranch_execnz .LBB3_352
	s_branch .LBB3_354
.LBB3_351:                              ;   in Loop: Header=BB3_276 Depth=1
	s_branch .LBB3_354
.LBB3_352:                              ;   Parent Loop BB3_276 Depth=1
                                        ; =>  This Inner Loop Header: Depth=2
	v_mov_b32_e32 v4, 1
	s_and_saveexec_b64 s[12:13], s[0:1]
	s_cbranch_execz .LBB3_349
; %bb.353:                              ;   in Loop: Header=BB3_352 Depth=2
	global_load_dword v4, v[27:28], off offset:20 glc
	s_waitcnt vmcnt(0)
	buffer_wbinvl1_vol
	v_and_b32_e32 v4, 1, v4
	s_branch .LBB3_349
.LBB3_354:                              ;   in Loop: Header=BB3_276 Depth=1
	global_load_dwordx2 v[2:3], v[2:3], off
	s_and_saveexec_b64 s[12:13], s[0:1]
	s_cbranch_execz .LBB3_275
; %bb.355:                              ;   in Loop: Header=BB3_276 Depth=1
	global_load_dwordx2 v[4:5], v26, s[2:3] offset:40
	global_load_dwordx2 v[14:15], v26, s[2:3] offset:24 glc
	global_load_dwordx2 v[6:7], v26, s[2:3]
	s_waitcnt vmcnt(2)
	v_readfirstlane_b32 s14, v4
	v_readfirstlane_b32 s15, v5
	s_add_u32 s16, s14, 1
	s_addc_u32 s17, s15, 0
	s_add_u32 s0, s16, s10
	s_addc_u32 s1, s17, s11
	s_cmp_eq_u64 s[0:1], 0
	s_cselect_b32 s1, s17, s1
	s_cselect_b32 s0, s16, s0
	s_and_b64 s[10:11], s[0:1], s[14:15]
	s_mul_i32 s11, s11, 24
	s_mul_hi_u32 s14, s10, 24
	s_mul_i32 s10, s10, 24
	s_add_i32 s11, s14, s11
	v_mov_b32_e32 v4, s11
	s_waitcnt vmcnt(0)
	v_add_co_u32_e32 v10, vcc, s10, v6
	v_addc_co_u32_e32 v11, vcc, v7, v4, vcc
	v_mov_b32_e32 v12, s0
	global_store_dwordx2 v[10:11], v[14:15], off
	v_mov_b32_e32 v13, s1
	s_waitcnt vmcnt(0)
	global_atomic_cmpswap_x2 v[6:7], v26, v[12:15], s[2:3] offset:24 glc
	s_waitcnt vmcnt(0)
	v_cmp_ne_u64_e32 vcc, v[6:7], v[14:15]
	s_and_b64 exec, exec, vcc
	s_cbranch_execz .LBB3_275
; %bb.356:                              ;   in Loop: Header=BB3_276 Depth=1
	s_mov_b64 s[10:11], 0
.LBB3_357:                              ;   Parent Loop BB3_276 Depth=1
                                        ; =>  This Inner Loop Header: Depth=2
	s_sleep 1
	global_store_dwordx2 v[10:11], v[6:7], off
	v_mov_b32_e32 v4, s0
	v_mov_b32_e32 v5, s1
	s_waitcnt vmcnt(0)
	global_atomic_cmpswap_x2 v[4:5], v26, v[4:7], s[2:3] offset:24 glc
	s_waitcnt vmcnt(0)
	v_cmp_eq_u64_e32 vcc, v[4:5], v[6:7]
	v_mov_b32_e32 v7, v5
	s_or_b64 s[10:11], vcc, s[10:11]
	v_mov_b32_e32 v6, v4
	s_andn2_b64 exec, exec, s[10:11]
	s_cbranch_execnz .LBB3_357
	s_branch .LBB3_275
.LBB3_358:
	s_mov_b64 s[0:1], -1
                                        ; implicit-def: $vgpr2_vgpr3
	s_branch .LBB3_360
.LBB3_359:
	s_mov_b64 s[0:1], 0
.LBB3_360:
	s_and_b64 vcc, exec, s[0:1]
	s_cbranch_vccz .LBB3_387
; %bb.361:
	v_readfirstlane_b32 s0, v32
	v_mov_b32_e32 v8, 0
	v_mov_b32_e32 v9, 0
	v_cmp_eq_u32_e64 s[0:1], s0, v32
	s_and_saveexec_b64 s[4:5], s[0:1]
	s_cbranch_execz .LBB3_367
; %bb.362:
	s_waitcnt vmcnt(0)
	v_mov_b32_e32 v2, 0
	global_load_dwordx2 v[5:6], v2, s[2:3] offset:24 glc
	s_waitcnt vmcnt(0)
	buffer_wbinvl1_vol
	global_load_dwordx2 v[3:4], v2, s[2:3] offset:40
	global_load_dwordx2 v[7:8], v2, s[2:3]
	s_waitcnt vmcnt(1)
	v_and_b32_e32 v3, v3, v5
	v_and_b32_e32 v4, v4, v6
	v_mul_lo_u32 v4, v4, 24
	v_mul_hi_u32 v9, v3, 24
	v_mul_lo_u32 v3, v3, 24
	v_add_u32_e32 v4, v9, v4
	s_waitcnt vmcnt(0)
	v_add_co_u32_e32 v3, vcc, v7, v3
	v_addc_co_u32_e32 v4, vcc, v8, v4, vcc
	global_load_dwordx2 v[3:4], v[3:4], off glc
	s_waitcnt vmcnt(0)
	global_atomic_cmpswap_x2 v[8:9], v2, v[3:6], s[2:3] offset:24 glc
	s_waitcnt vmcnt(0)
	buffer_wbinvl1_vol
	v_cmp_ne_u64_e32 vcc, v[8:9], v[5:6]
	s_and_saveexec_b64 s[6:7], vcc
	s_cbranch_execz .LBB3_366
; %bb.363:
	s_mov_b64 s[8:9], 0
.LBB3_364:                              ; =>This Inner Loop Header: Depth=1
	s_sleep 1
	global_load_dwordx2 v[3:4], v2, s[2:3] offset:40
	global_load_dwordx2 v[10:11], v2, s[2:3]
	v_mov_b32_e32 v5, v8
	v_mov_b32_e32 v6, v9
	s_waitcnt vmcnt(1)
	v_and_b32_e32 v3, v3, v5
	s_waitcnt vmcnt(0)
	v_mad_u64_u32 v[7:8], s[10:11], v3, 24, v[10:11]
	v_and_b32_e32 v4, v4, v6
	v_mov_b32_e32 v3, v8
	v_mad_u64_u32 v[3:4], s[10:11], v4, 24, v[3:4]
	v_mov_b32_e32 v8, v3
	global_load_dwordx2 v[3:4], v[7:8], off glc
	s_waitcnt vmcnt(0)
	global_atomic_cmpswap_x2 v[8:9], v2, v[3:6], s[2:3] offset:24 glc
	s_waitcnt vmcnt(0)
	buffer_wbinvl1_vol
	v_cmp_eq_u64_e32 vcc, v[8:9], v[5:6]
	s_or_b64 s[8:9], vcc, s[8:9]
	s_andn2_b64 exec, exec, s[8:9]
	s_cbranch_execnz .LBB3_364
; %bb.365:
	s_or_b64 exec, exec, s[8:9]
.LBB3_366:
	s_or_b64 exec, exec, s[6:7]
.LBB3_367:
	s_or_b64 exec, exec, s[4:5]
	s_waitcnt vmcnt(0)
	v_mov_b32_e32 v2, 0
	global_load_dwordx2 v[10:11], v2, s[2:3] offset:40
	global_load_dwordx4 v[4:7], v2, s[2:3]
	v_readfirstlane_b32 s5, v9
	v_readfirstlane_b32 s4, v8
	s_mov_b64 s[6:7], exec
	s_waitcnt vmcnt(1)
	v_readfirstlane_b32 s8, v10
	v_readfirstlane_b32 s9, v11
	s_and_b64 s[8:9], s[8:9], s[4:5]
	s_mul_i32 s10, s9, 24
	s_mul_hi_u32 s11, s8, 24
	s_mul_i32 s12, s8, 24
	s_add_i32 s10, s11, s10
	v_mov_b32_e32 v3, s10
	s_waitcnt vmcnt(0)
	v_add_co_u32_e32 v8, vcc, s12, v4
	v_addc_co_u32_e32 v9, vcc, v5, v3, vcc
	s_and_saveexec_b64 s[10:11], s[0:1]
	s_cbranch_execz .LBB3_369
; %bb.368:
	v_mov_b32_e32 v11, s7
	v_mov_b32_e32 v10, s6
	;; [unrolled: 1-line block ×4, first 2 shown]
	global_store_dwordx4 v[8:9], v[10:13], off offset:8
.LBB3_369:
	s_or_b64 exec, exec, s[10:11]
	s_lshl_b64 s[6:7], s[8:9], 12
	v_mov_b32_e32 v3, s7
	v_add_co_u32_e32 v10, vcc, s6, v6
	v_addc_co_u32_e32 v11, vcc, v7, v3, vcc
	s_movk_i32 s6, 0xff1f
	v_and_or_b32 v0, v0, s6, 32
	s_mov_b32 s8, 0
	v_mov_b32_e32 v3, v2
	v_readfirstlane_b32 s6, v10
	v_readfirstlane_b32 s7, v11
	v_add_co_u32_e32 v6, vcc, v10, v31
	s_mov_b32 s9, s8
	s_mov_b32 s10, s8
	;; [unrolled: 1-line block ×3, first 2 shown]
	s_nop 0
	global_store_dwordx4 v31, v[0:3], s[6:7]
	v_addc_co_u32_e32 v7, vcc, 0, v11, vcc
	v_mov_b32_e32 v0, s8
	v_mov_b32_e32 v1, s9
	;; [unrolled: 1-line block ×4, first 2 shown]
	global_store_dwordx4 v31, v[0:3], s[6:7] offset:16
	global_store_dwordx4 v31, v[0:3], s[6:7] offset:32
	;; [unrolled: 1-line block ×3, first 2 shown]
	s_and_saveexec_b64 s[6:7], s[0:1]
	s_cbranch_execz .LBB3_377
; %bb.370:
	v_mov_b32_e32 v10, 0
	global_load_dwordx2 v[13:14], v10, s[2:3] offset:32 glc
	global_load_dwordx2 v[0:1], v10, s[2:3] offset:40
	v_mov_b32_e32 v11, s4
	v_mov_b32_e32 v12, s5
	s_waitcnt vmcnt(0)
	v_readfirstlane_b32 s8, v0
	v_readfirstlane_b32 s9, v1
	s_and_b64 s[8:9], s[8:9], s[4:5]
	s_mul_i32 s9, s9, 24
	s_mul_hi_u32 s10, s8, 24
	s_mul_i32 s8, s8, 24
	s_add_i32 s9, s10, s9
	v_mov_b32_e32 v0, s9
	v_add_co_u32_e32 v4, vcc, s8, v4
	v_addc_co_u32_e32 v5, vcc, v5, v0, vcc
	global_store_dwordx2 v[4:5], v[13:14], off
	s_waitcnt vmcnt(0)
	global_atomic_cmpswap_x2 v[2:3], v10, v[11:14], s[2:3] offset:32 glc
	s_waitcnt vmcnt(0)
	v_cmp_ne_u64_e32 vcc, v[2:3], v[13:14]
	s_and_saveexec_b64 s[8:9], vcc
	s_cbranch_execz .LBB3_373
; %bb.371:
	s_mov_b64 s[10:11], 0
.LBB3_372:                              ; =>This Inner Loop Header: Depth=1
	s_sleep 1
	global_store_dwordx2 v[4:5], v[2:3], off
	v_mov_b32_e32 v0, s4
	v_mov_b32_e32 v1, s5
	s_waitcnt vmcnt(0)
	global_atomic_cmpswap_x2 v[0:1], v10, v[0:3], s[2:3] offset:32 glc
	s_waitcnt vmcnt(0)
	v_cmp_eq_u64_e32 vcc, v[0:1], v[2:3]
	v_mov_b32_e32 v3, v1
	s_or_b64 s[10:11], vcc, s[10:11]
	v_mov_b32_e32 v2, v0
	s_andn2_b64 exec, exec, s[10:11]
	s_cbranch_execnz .LBB3_372
.LBB3_373:
	s_or_b64 exec, exec, s[8:9]
	v_mov_b32_e32 v3, 0
	global_load_dwordx2 v[0:1], v3, s[2:3] offset:16
	s_mov_b64 s[8:9], exec
	v_mbcnt_lo_u32_b32 v2, s8, 0
	v_mbcnt_hi_u32_b32 v2, s9, v2
	v_cmp_eq_u32_e32 vcc, 0, v2
	s_and_saveexec_b64 s[10:11], vcc
	s_cbranch_execz .LBB3_375
; %bb.374:
	s_bcnt1_i32_b64 s8, s[8:9]
	v_mov_b32_e32 v2, s8
	s_waitcnt vmcnt(0)
	global_atomic_add_x2 v[0:1], v[2:3], off offset:8
.LBB3_375:
	s_or_b64 exec, exec, s[10:11]
	s_waitcnt vmcnt(0)
	global_load_dwordx2 v[2:3], v[0:1], off offset:16
	s_waitcnt vmcnt(0)
	v_cmp_eq_u64_e32 vcc, 0, v[2:3]
	s_cbranch_vccnz .LBB3_377
; %bb.376:
	global_load_dword v0, v[0:1], off offset:24
	v_mov_b32_e32 v1, 0
	s_waitcnt vmcnt(0)
	v_readfirstlane_b32 s8, v0
	s_and_b32 m0, s8, 0xffffff
	global_store_dwordx2 v[2:3], v[0:1], off
	s_sendmsg sendmsg(MSG_INTERRUPT)
.LBB3_377:
	s_or_b64 exec, exec, s[6:7]
	s_branch .LBB3_381
.LBB3_378:                              ;   in Loop: Header=BB3_381 Depth=1
	s_or_b64 exec, exec, s[6:7]
	v_readfirstlane_b32 s6, v0
	s_cmp_eq_u32 s6, 0
	s_cbranch_scc1 .LBB3_380
; %bb.379:                              ;   in Loop: Header=BB3_381 Depth=1
	s_sleep 1
	s_cbranch_execnz .LBB3_381
	s_branch .LBB3_383
.LBB3_380:
	s_branch .LBB3_383
.LBB3_381:                              ; =>This Inner Loop Header: Depth=1
	v_mov_b32_e32 v0, 1
	s_and_saveexec_b64 s[6:7], s[0:1]
	s_cbranch_execz .LBB3_378
; %bb.382:                              ;   in Loop: Header=BB3_381 Depth=1
	global_load_dword v0, v[8:9], off offset:20 glc
	s_waitcnt vmcnt(0)
	buffer_wbinvl1_vol
	v_and_b32_e32 v0, 1, v0
	s_branch .LBB3_378
.LBB3_383:
	global_load_dwordx2 v[2:3], v[6:7], off
	s_and_saveexec_b64 s[6:7], s[0:1]
	s_cbranch_execz .LBB3_386
; %bb.384:
	v_mov_b32_e32 v8, 0
	global_load_dwordx2 v[0:1], v8, s[2:3] offset:40
	global_load_dwordx2 v[11:12], v8, s[2:3] offset:24 glc
	global_load_dwordx2 v[4:5], v8, s[2:3]
	s_waitcnt vmcnt(2)
	v_readfirstlane_b32 s8, v0
	v_readfirstlane_b32 s9, v1
	s_add_u32 s10, s8, 1
	s_addc_u32 s11, s9, 0
	s_add_u32 s0, s10, s4
	s_addc_u32 s1, s11, s5
	s_cmp_eq_u64 s[0:1], 0
	s_cselect_b32 s1, s11, s1
	s_cselect_b32 s0, s10, s0
	s_and_b64 s[4:5], s[0:1], s[8:9]
	s_mul_i32 s5, s5, 24
	s_mul_hi_u32 s8, s4, 24
	s_mul_i32 s4, s4, 24
	s_add_i32 s5, s8, s5
	v_mov_b32_e32 v1, s5
	s_waitcnt vmcnt(0)
	v_add_co_u32_e32 v0, vcc, s4, v4
	v_addc_co_u32_e32 v1, vcc, v5, v1, vcc
	v_mov_b32_e32 v9, s0
	global_store_dwordx2 v[0:1], v[11:12], off
	v_mov_b32_e32 v10, s1
	s_waitcnt vmcnt(0)
	global_atomic_cmpswap_x2 v[6:7], v8, v[9:12], s[2:3] offset:24 glc
	s_mov_b64 s[4:5], 0
	s_waitcnt vmcnt(0)
	v_cmp_ne_u64_e32 vcc, v[6:7], v[11:12]
	s_and_b64 exec, exec, vcc
	s_cbranch_execz .LBB3_386
.LBB3_385:                              ; =>This Inner Loop Header: Depth=1
	s_sleep 1
	global_store_dwordx2 v[0:1], v[6:7], off
	v_mov_b32_e32 v4, s0
	v_mov_b32_e32 v5, s1
	s_waitcnt vmcnt(0)
	global_atomic_cmpswap_x2 v[4:5], v8, v[4:7], s[2:3] offset:24 glc
	s_waitcnt vmcnt(0)
	v_cmp_eq_u64_e32 vcc, v[4:5], v[6:7]
	v_mov_b32_e32 v7, v5
	s_or_b64 s[4:5], vcc, s[4:5]
	v_mov_b32_e32 v6, v4
	s_andn2_b64 exec, exec, s[4:5]
	s_cbranch_execnz .LBB3_385
.LBB3_386:
	s_or_b64 exec, exec, s[6:7]
.LBB3_387:
	v_readfirstlane_b32 s0, v32
	s_waitcnt vmcnt(0)
	v_mov_b32_e32 v0, 0
	v_mov_b32_e32 v1, 0
	v_cmp_eq_u32_e64 s[0:1], s0, v32
	s_and_saveexec_b64 s[4:5], s[0:1]
	s_cbranch_execz .LBB3_393
; %bb.388:
	v_mov_b32_e32 v4, 0
	global_load_dwordx2 v[7:8], v4, s[2:3] offset:24 glc
	s_waitcnt vmcnt(0)
	buffer_wbinvl1_vol
	global_load_dwordx2 v[0:1], v4, s[2:3] offset:40
	global_load_dwordx2 v[5:6], v4, s[2:3]
	s_waitcnt vmcnt(1)
	v_and_b32_e32 v0, v0, v7
	v_and_b32_e32 v1, v1, v8
	v_mul_lo_u32 v1, v1, 24
	v_mul_hi_u32 v9, v0, 24
	v_mul_lo_u32 v0, v0, 24
	v_add_u32_e32 v1, v9, v1
	s_waitcnt vmcnt(0)
	v_add_co_u32_e32 v0, vcc, v5, v0
	v_addc_co_u32_e32 v1, vcc, v6, v1, vcc
	global_load_dwordx2 v[5:6], v[0:1], off glc
	s_waitcnt vmcnt(0)
	global_atomic_cmpswap_x2 v[0:1], v4, v[5:8], s[2:3] offset:24 glc
	s_waitcnt vmcnt(0)
	buffer_wbinvl1_vol
	v_cmp_ne_u64_e32 vcc, v[0:1], v[7:8]
	s_and_saveexec_b64 s[6:7], vcc
	s_cbranch_execz .LBB3_392
; %bb.389:
	s_mov_b64 s[8:9], 0
.LBB3_390:                              ; =>This Inner Loop Header: Depth=1
	s_sleep 1
	global_load_dwordx2 v[5:6], v4, s[2:3] offset:40
	global_load_dwordx2 v[9:10], v4, s[2:3]
	v_mov_b32_e32 v8, v1
	v_mov_b32_e32 v7, v0
	s_waitcnt vmcnt(1)
	v_and_b32_e32 v0, v5, v7
	s_waitcnt vmcnt(0)
	v_mad_u64_u32 v[0:1], s[10:11], v0, 24, v[9:10]
	v_and_b32_e32 v5, v6, v8
	v_mad_u64_u32 v[5:6], s[10:11], v5, 24, v[1:2]
	v_mov_b32_e32 v1, v5
	global_load_dwordx2 v[5:6], v[0:1], off glc
	s_waitcnt vmcnt(0)
	global_atomic_cmpswap_x2 v[0:1], v4, v[5:8], s[2:3] offset:24 glc
	s_waitcnt vmcnt(0)
	buffer_wbinvl1_vol
	v_cmp_eq_u64_e32 vcc, v[0:1], v[7:8]
	s_or_b64 s[8:9], vcc, s[8:9]
	s_andn2_b64 exec, exec, s[8:9]
	s_cbranch_execnz .LBB3_390
; %bb.391:
	s_or_b64 exec, exec, s[8:9]
.LBB3_392:
	s_or_b64 exec, exec, s[6:7]
.LBB3_393:
	s_or_b64 exec, exec, s[4:5]
	v_mov_b32_e32 v5, 0
	global_load_dwordx2 v[10:11], v5, s[2:3] offset:40
	global_load_dwordx4 v[6:9], v5, s[2:3]
	v_readfirstlane_b32 s5, v1
	v_readfirstlane_b32 s4, v0
	s_mov_b64 s[6:7], exec
	s_waitcnt vmcnt(1)
	v_readfirstlane_b32 s8, v10
	v_readfirstlane_b32 s9, v11
	s_and_b64 s[8:9], s[8:9], s[4:5]
	s_mul_i32 s10, s9, 24
	s_mul_hi_u32 s11, s8, 24
	s_mul_i32 s12, s8, 24
	s_add_i32 s10, s11, s10
	v_mov_b32_e32 v0, s10
	s_waitcnt vmcnt(0)
	v_add_co_u32_e32 v10, vcc, s12, v6
	v_addc_co_u32_e32 v11, vcc, v7, v0, vcc
	s_and_saveexec_b64 s[10:11], s[0:1]
	s_cbranch_execz .LBB3_395
; %bb.394:
	v_mov_b32_e32 v13, s7
	v_mov_b32_e32 v12, s6
	;; [unrolled: 1-line block ×4, first 2 shown]
	global_store_dwordx4 v[10:11], v[12:15], off offset:8
.LBB3_395:
	s_or_b64 exec, exec, s[10:11]
	s_lshl_b64 s[6:7], s[8:9], 12
	v_mov_b32_e32 v0, s7
	v_add_co_u32_e32 v1, vcc, s6, v8
	v_addc_co_u32_e32 v0, vcc, v9, v0, vcc
	s_movk_i32 s6, 0xff1d
	v_and_or_b32 v2, v2, s6, 34
	s_mov_b32 s8, 0
	v_mov_b32_e32 v4, 0x7c
	v_readfirstlane_b32 s6, v1
	v_readfirstlane_b32 s7, v0
	s_mov_b32 s9, s8
	s_mov_b32 s10, s8
	;; [unrolled: 1-line block ×3, first 2 shown]
	s_nop 1
	global_store_dwordx4 v31, v[2:5], s[6:7]
	v_mov_b32_e32 v0, s8
	v_mov_b32_e32 v1, s9
	;; [unrolled: 1-line block ×4, first 2 shown]
	global_store_dwordx4 v31, v[0:3], s[6:7] offset:16
	global_store_dwordx4 v31, v[0:3], s[6:7] offset:32
	;; [unrolled: 1-line block ×3, first 2 shown]
	s_and_saveexec_b64 s[6:7], s[0:1]
	s_cbranch_execz .LBB3_403
; %bb.396:
	v_mov_b32_e32 v8, 0
	global_load_dwordx2 v[14:15], v8, s[2:3] offset:32 glc
	global_load_dwordx2 v[0:1], v8, s[2:3] offset:40
	v_mov_b32_e32 v12, s4
	v_mov_b32_e32 v13, s5
	s_waitcnt vmcnt(0)
	v_readfirstlane_b32 s8, v0
	v_readfirstlane_b32 s9, v1
	s_and_b64 s[8:9], s[8:9], s[4:5]
	s_mul_i32 s9, s9, 24
	s_mul_hi_u32 s10, s8, 24
	s_mul_i32 s8, s8, 24
	s_add_i32 s9, s10, s9
	v_mov_b32_e32 v0, s9
	v_add_co_u32_e32 v4, vcc, s8, v6
	v_addc_co_u32_e32 v5, vcc, v7, v0, vcc
	global_store_dwordx2 v[4:5], v[14:15], off
	s_waitcnt vmcnt(0)
	global_atomic_cmpswap_x2 v[2:3], v8, v[12:15], s[2:3] offset:32 glc
	s_waitcnt vmcnt(0)
	v_cmp_ne_u64_e32 vcc, v[2:3], v[14:15]
	s_and_saveexec_b64 s[8:9], vcc
	s_cbranch_execz .LBB3_399
; %bb.397:
	s_mov_b64 s[10:11], 0
.LBB3_398:                              ; =>This Inner Loop Header: Depth=1
	s_sleep 1
	global_store_dwordx2 v[4:5], v[2:3], off
	v_mov_b32_e32 v0, s4
	v_mov_b32_e32 v1, s5
	s_waitcnt vmcnt(0)
	global_atomic_cmpswap_x2 v[0:1], v8, v[0:3], s[2:3] offset:32 glc
	s_waitcnt vmcnt(0)
	v_cmp_eq_u64_e32 vcc, v[0:1], v[2:3]
	v_mov_b32_e32 v3, v1
	s_or_b64 s[10:11], vcc, s[10:11]
	v_mov_b32_e32 v2, v0
	s_andn2_b64 exec, exec, s[10:11]
	s_cbranch_execnz .LBB3_398
.LBB3_399:
	s_or_b64 exec, exec, s[8:9]
	v_mov_b32_e32 v3, 0
	global_load_dwordx2 v[0:1], v3, s[2:3] offset:16
	s_mov_b64 s[8:9], exec
	v_mbcnt_lo_u32_b32 v2, s8, 0
	v_mbcnt_hi_u32_b32 v2, s9, v2
	v_cmp_eq_u32_e32 vcc, 0, v2
	s_and_saveexec_b64 s[10:11], vcc
	s_cbranch_execz .LBB3_401
; %bb.400:
	s_bcnt1_i32_b64 s8, s[8:9]
	v_mov_b32_e32 v2, s8
	s_waitcnt vmcnt(0)
	global_atomic_add_x2 v[0:1], v[2:3], off offset:8
.LBB3_401:
	s_or_b64 exec, exec, s[10:11]
	s_waitcnt vmcnt(0)
	global_load_dwordx2 v[2:3], v[0:1], off offset:16
	s_waitcnt vmcnt(0)
	v_cmp_eq_u64_e32 vcc, 0, v[2:3]
	s_cbranch_vccnz .LBB3_403
; %bb.402:
	global_load_dword v0, v[0:1], off offset:24
	v_mov_b32_e32 v1, 0
	s_waitcnt vmcnt(0)
	v_readfirstlane_b32 s8, v0
	s_and_b32 m0, s8, 0xffffff
	global_store_dwordx2 v[2:3], v[0:1], off
	s_sendmsg sendmsg(MSG_INTERRUPT)
.LBB3_403:
	s_or_b64 exec, exec, s[6:7]
	s_branch .LBB3_407
.LBB3_404:                              ;   in Loop: Header=BB3_407 Depth=1
	s_or_b64 exec, exec, s[6:7]
	v_readfirstlane_b32 s6, v0
	s_cmp_eq_u32 s6, 0
	s_cbranch_scc1 .LBB3_406
; %bb.405:                              ;   in Loop: Header=BB3_407 Depth=1
	s_sleep 1
	s_cbranch_execnz .LBB3_407
	s_branch .LBB3_409
.LBB3_406:
	s_branch .LBB3_409
.LBB3_407:                              ; =>This Inner Loop Header: Depth=1
	v_mov_b32_e32 v0, 1
	s_and_saveexec_b64 s[6:7], s[0:1]
	s_cbranch_execz .LBB3_404
; %bb.408:                              ;   in Loop: Header=BB3_407 Depth=1
	global_load_dword v0, v[10:11], off offset:20 glc
	s_waitcnt vmcnt(0)
	buffer_wbinvl1_vol
	v_and_b32_e32 v0, 1, v0
	s_branch .LBB3_404
.LBB3_409:
	s_and_saveexec_b64 s[6:7], s[0:1]
	s_cbranch_execz .LBB3_412
; %bb.410:
	v_mov_b32_e32 v6, 0
	global_load_dwordx2 v[0:1], v6, s[2:3] offset:40
	global_load_dwordx2 v[9:10], v6, s[2:3] offset:24 glc
	global_load_dwordx2 v[2:3], v6, s[2:3]
	s_waitcnt vmcnt(2)
	v_readfirstlane_b32 s8, v0
	v_readfirstlane_b32 s9, v1
	s_add_u32 s10, s8, 1
	s_addc_u32 s11, s9, 0
	s_add_u32 s0, s10, s4
	s_addc_u32 s1, s11, s5
	s_cmp_eq_u64 s[0:1], 0
	s_cselect_b32 s1, s11, s1
	s_cselect_b32 s0, s10, s0
	s_and_b64 s[4:5], s[0:1], s[8:9]
	s_mul_i32 s5, s5, 24
	s_mul_hi_u32 s8, s4, 24
	s_mul_i32 s4, s4, 24
	s_add_i32 s5, s8, s5
	v_mov_b32_e32 v0, s5
	s_waitcnt vmcnt(0)
	v_add_co_u32_e32 v4, vcc, s4, v2
	v_addc_co_u32_e32 v5, vcc, v3, v0, vcc
	v_mov_b32_e32 v7, s0
	global_store_dwordx2 v[4:5], v[9:10], off
	v_mov_b32_e32 v8, s1
	s_waitcnt vmcnt(0)
	global_atomic_cmpswap_x2 v[2:3], v6, v[7:10], s[2:3] offset:24 glc
	s_mov_b64 s[4:5], 0
	s_waitcnt vmcnt(0)
	v_cmp_ne_u64_e32 vcc, v[2:3], v[9:10]
	s_and_b64 exec, exec, vcc
	s_cbranch_execz .LBB3_412
.LBB3_411:                              ; =>This Inner Loop Header: Depth=1
	s_sleep 1
	global_store_dwordx2 v[4:5], v[2:3], off
	v_mov_b32_e32 v0, s0
	v_mov_b32_e32 v1, s1
	s_waitcnt vmcnt(0)
	global_atomic_cmpswap_x2 v[0:1], v6, v[0:3], s[2:3] offset:24 glc
	s_waitcnt vmcnt(0)
	v_cmp_eq_u64_e32 vcc, v[0:1], v[2:3]
	v_mov_b32_e32 v3, v1
	s_or_b64 s[4:5], vcc, s[4:5]
	v_mov_b32_e32 v2, v0
	s_andn2_b64 exec, exec, s[4:5]
	s_cbranch_execnz .LBB3_411
.LBB3_412:
	s_or_b64 exec, exec, s[6:7]
	s_trap 2
	; divergent unreachable
	s_endpgm
	.section	.rodata,"a",@progbits
	.p2align	6, 0x0
	.amdhsa_kernel _ZN9rocsparseL38csr2csr_compress_use_warp_start_deviceILj256ELj32ELj2EfEEvi21rocsparse_index_base_PKT2_PKiS1_PS2_PiPKjS2_
		.amdhsa_group_segment_fixed_size 0
		.amdhsa_private_segment_fixed_size 0
		.amdhsa_kernarg_size 320
		.amdhsa_user_sgpr_count 6
		.amdhsa_user_sgpr_private_segment_buffer 1
		.amdhsa_user_sgpr_dispatch_ptr 0
		.amdhsa_user_sgpr_queue_ptr 0
		.amdhsa_user_sgpr_kernarg_segment_ptr 1
		.amdhsa_user_sgpr_dispatch_id 0
		.amdhsa_user_sgpr_flat_scratch_init 0
		.amdhsa_user_sgpr_private_segment_size 0
		.amdhsa_uses_dynamic_stack 0
		.amdhsa_system_sgpr_private_segment_wavefront_offset 0
		.amdhsa_system_sgpr_workgroup_id_x 1
		.amdhsa_system_sgpr_workgroup_id_y 0
		.amdhsa_system_sgpr_workgroup_id_z 0
		.amdhsa_system_sgpr_workgroup_info 0
		.amdhsa_system_vgpr_workitem_id 0
		.amdhsa_next_free_vgpr 34
		.amdhsa_next_free_sgpr 28
		.amdhsa_reserve_vcc 1
		.amdhsa_reserve_flat_scratch 0
		.amdhsa_float_round_mode_32 0
		.amdhsa_float_round_mode_16_64 0
		.amdhsa_float_denorm_mode_32 3
		.amdhsa_float_denorm_mode_16_64 3
		.amdhsa_dx10_clamp 1
		.amdhsa_ieee_mode 1
		.amdhsa_fp16_overflow 0
		.amdhsa_exception_fp_ieee_invalid_op 0
		.amdhsa_exception_fp_denorm_src 0
		.amdhsa_exception_fp_ieee_div_zero 0
		.amdhsa_exception_fp_ieee_overflow 0
		.amdhsa_exception_fp_ieee_underflow 0
		.amdhsa_exception_fp_ieee_inexact 0
		.amdhsa_exception_int_div_zero 0
	.end_amdhsa_kernel
	.section	.text._ZN9rocsparseL38csr2csr_compress_use_warp_start_deviceILj256ELj32ELj2EfEEvi21rocsparse_index_base_PKT2_PKiS1_PS2_PiPKjS2_,"axG",@progbits,_ZN9rocsparseL38csr2csr_compress_use_warp_start_deviceILj256ELj32ELj2EfEEvi21rocsparse_index_base_PKT2_PKiS1_PS2_PiPKjS2_,comdat
.Lfunc_end3:
	.size	_ZN9rocsparseL38csr2csr_compress_use_warp_start_deviceILj256ELj32ELj2EfEEvi21rocsparse_index_base_PKT2_PKiS1_PS2_PiPKjS2_, .Lfunc_end3-_ZN9rocsparseL38csr2csr_compress_use_warp_start_deviceILj256ELj32ELj2EfEEvi21rocsparse_index_base_PKT2_PKiS1_PS2_PiPKjS2_
                                        ; -- End function
	.set _ZN9rocsparseL38csr2csr_compress_use_warp_start_deviceILj256ELj32ELj2EfEEvi21rocsparse_index_base_PKT2_PKiS1_PS2_PiPKjS2_.num_vgpr, 34
	.set _ZN9rocsparseL38csr2csr_compress_use_warp_start_deviceILj256ELj32ELj2EfEEvi21rocsparse_index_base_PKT2_PKiS1_PS2_PiPKjS2_.num_agpr, 0
	.set _ZN9rocsparseL38csr2csr_compress_use_warp_start_deviceILj256ELj32ELj2EfEEvi21rocsparse_index_base_PKT2_PKiS1_PS2_PiPKjS2_.numbered_sgpr, 28
	.set _ZN9rocsparseL38csr2csr_compress_use_warp_start_deviceILj256ELj32ELj2EfEEvi21rocsparse_index_base_PKT2_PKiS1_PS2_PiPKjS2_.num_named_barrier, 0
	.set _ZN9rocsparseL38csr2csr_compress_use_warp_start_deviceILj256ELj32ELj2EfEEvi21rocsparse_index_base_PKT2_PKiS1_PS2_PiPKjS2_.private_seg_size, 0
	.set _ZN9rocsparseL38csr2csr_compress_use_warp_start_deviceILj256ELj32ELj2EfEEvi21rocsparse_index_base_PKT2_PKiS1_PS2_PiPKjS2_.uses_vcc, 1
	.set _ZN9rocsparseL38csr2csr_compress_use_warp_start_deviceILj256ELj32ELj2EfEEvi21rocsparse_index_base_PKT2_PKiS1_PS2_PiPKjS2_.uses_flat_scratch, 0
	.set _ZN9rocsparseL38csr2csr_compress_use_warp_start_deviceILj256ELj32ELj2EfEEvi21rocsparse_index_base_PKT2_PKiS1_PS2_PiPKjS2_.has_dyn_sized_stack, 0
	.set _ZN9rocsparseL38csr2csr_compress_use_warp_start_deviceILj256ELj32ELj2EfEEvi21rocsparse_index_base_PKT2_PKiS1_PS2_PiPKjS2_.has_recursion, 0
	.set _ZN9rocsparseL38csr2csr_compress_use_warp_start_deviceILj256ELj32ELj2EfEEvi21rocsparse_index_base_PKT2_PKiS1_PS2_PiPKjS2_.has_indirect_call, 0
	.section	.AMDGPU.csdata,"",@progbits
; Kernel info:
; codeLenInByte = 13672
; TotalNumSgprs: 32
; NumVgprs: 34
; ScratchSize: 0
; MemoryBound: 0
; FloatMode: 240
; IeeeMode: 1
; LDSByteSize: 0 bytes/workgroup (compile time only)
; SGPRBlocks: 3
; VGPRBlocks: 8
; NumSGPRsForWavesPerEU: 32
; NumVGPRsForWavesPerEU: 34
; Occupancy: 7
; WaveLimiterHint : 1
; COMPUTE_PGM_RSRC2:SCRATCH_EN: 0
; COMPUTE_PGM_RSRC2:USER_SGPR: 6
; COMPUTE_PGM_RSRC2:TRAP_HANDLER: 0
; COMPUTE_PGM_RSRC2:TGID_X_EN: 1
; COMPUTE_PGM_RSRC2:TGID_Y_EN: 0
; COMPUTE_PGM_RSRC2:TGID_Z_EN: 0
; COMPUTE_PGM_RSRC2:TIDIG_COMP_CNT: 0
	.section	.text._ZN9rocsparseL38csr2csr_compress_use_warp_start_deviceILj256ELj64ELj2EfEEvi21rocsparse_index_base_PKT2_PKiS1_PS2_PiPKjS2_,"axG",@progbits,_ZN9rocsparseL38csr2csr_compress_use_warp_start_deviceILj256ELj64ELj2EfEEvi21rocsparse_index_base_PKT2_PKiS1_PS2_PiPKjS2_,comdat
	.globl	_ZN9rocsparseL38csr2csr_compress_use_warp_start_deviceILj256ELj64ELj2EfEEvi21rocsparse_index_base_PKT2_PKiS1_PS2_PiPKjS2_ ; -- Begin function _ZN9rocsparseL38csr2csr_compress_use_warp_start_deviceILj256ELj64ELj2EfEEvi21rocsparse_index_base_PKT2_PKiS1_PS2_PiPKjS2_
	.p2align	8
	.type	_ZN9rocsparseL38csr2csr_compress_use_warp_start_deviceILj256ELj64ELj2EfEEvi21rocsparse_index_base_PKT2_PKiS1_PS2_PiPKjS2_,@function
_ZN9rocsparseL38csr2csr_compress_use_warp_start_deviceILj256ELj64ELj2EfEEvi21rocsparse_index_base_PKT2_PKiS1_PS2_PiPKjS2_: ; @_ZN9rocsparseL38csr2csr_compress_use_warp_start_deviceILj256ELj64ELj2EfEEvi21rocsparse_index_base_PKT2_PKiS1_PS2_PiPKjS2_
; %bb.0:
	s_load_dwordx4 s[12:15], s[4:5], 0x0
	s_load_dwordx2 s[16:17], s[4:5], 0x10
	s_load_dword s0, s[4:5], 0x18
	s_load_dwordx4 s[8:11], s[4:5], 0x20
	s_load_dwordx2 s[18:19], s[4:5], 0x30
	s_load_dword s27, s[4:5], 0x38
	v_not_b32_e32 v1, v0
	v_lshl_or_b32 v4, s6, 9, v0
	v_lshrrev_b32_e32 v0, 6, v0
	v_lshrrev_b64 v[2:3], v1, -1
	s_mov_b64 s[20:21], -1
	v_lshl_or_b32 v0, s6, 3, v0
	s_waitcnt lgkmcnt(0)
	s_sub_i32 s26, s0, s13
	v_cmp_le_i32_e32 vcc, s12, v4
	v_cmp_gt_i32_e64 s[0:1], s12, v4
	s_mov_b64 s[2:3], 0
	s_and_saveexec_b64 s[6:7], s[0:1]
	s_cbranch_execnz .LBB4_4
; %bb.1:
	s_or_b64 exec, exec, s[6:7]
	s_and_saveexec_b64 s[6:7], vcc
	s_cbranch_execnz .LBB4_9
.LBB4_2:
	s_or_b64 exec, exec, s[6:7]
	s_and_saveexec_b64 s[0:1], s[2:3]
	s_xor_b64 s[0:1], exec, s[0:1]
	s_cbranch_execnz .LBB4_16
.LBB4_3:
	s_endpgm
.LBB4_4:
	v_ashrrev_i32_e32 v5, 31, v4
	v_lshlrev_b64 v[5:6], 2, v[4:5]
	v_mov_b32_e32 v1, s15
	v_add_co_u32_e64 v7, s[0:1], s14, v5
	v_addc_co_u32_e64 v8, s[0:1], v1, v6, s[0:1]
	global_load_dword v9, v[7:8], off glc slc
	s_mov_b32 s2, 0x800000
	s_mov_b64 s[22:23], 0
	s_waitcnt vmcnt(0)
	v_cmp_gt_f32_e64 s[0:1], 0, v9
	v_cndmask_b32_e64 v1, v9, -v9, s[0:1]
	v_cmp_lt_f32_e64 s[0:1], s27, v1
	v_cmp_lt_f32_e64 s[2:3], s2, v1
	s_and_b64 s[24:25], s[0:1], s[2:3]
	v_cndmask_b32_e64 v1, 0, 1, s[24:25]
	v_cmp_ne_u32_e64 s[0:1], 0, v1
	s_and_saveexec_b64 s[2:3], s[24:25]
	s_cbranch_execz .LBB4_8
; %bb.5:
	v_and_b32_e32 v8, s1, v3
	v_and_b32_e32 v7, s0, v2
	v_cmp_ne_u64_e64 s[0:1], 0, v[7:8]
	s_mov_b64 s[20:21], 0
	s_mov_b64 s[24:25], -1
	s_and_saveexec_b64 s[22:23], s[0:1]
	s_cbranch_execz .LBB4_7
; %bb.6:
	v_mov_b32_e32 v1, 0
	v_lshlrev_b64 v[10:11], 2, v[0:1]
	v_mov_b32_e32 v12, s19
	v_add_co_u32_e64 v10, s[0:1], s18, v10
	v_addc_co_u32_e64 v11, s[0:1], v12, v11, s[0:1]
	v_mov_b32_e32 v12, s17
	v_add_co_u32_e64 v5, s[0:1], s16, v5
	v_addc_co_u32_e64 v6, s[0:1], v12, v6, s[0:1]
	global_load_dword v12, v[5:6], off
	global_load_dword v13, v[10:11], off
	v_bcnt_u32_b32 v5, v7, 0
	v_bcnt_u32_b32 v5, v8, v5
	v_mov_b32_e32 v6, v1
	v_mov_b32_e32 v10, s9
	s_mov_b64 s[20:21], exec
	v_mov_b32_e32 v11, s11
	s_xor_b64 s[24:25], exec, -1
	s_waitcnt vmcnt(1)
	v_add_u32_e32 v1, s26, v12
	s_waitcnt vmcnt(0)
	v_add3_u32 v5, v5, v13, -1
	v_lshlrev_b64 v[5:6], 2, v[5:6]
	v_add_co_u32_e64 v7, s[0:1], s8, v5
	v_addc_co_u32_e64 v8, s[0:1], v10, v6, s[0:1]
	v_add_co_u32_e64 v5, s[0:1], s10, v5
	v_addc_co_u32_e64 v6, s[0:1], v11, v6, s[0:1]
	global_store_dword v[7:8], v9, off
	global_store_dword v[5:6], v1, off
.LBB4_7:
	s_or_b64 exec, exec, s[22:23]
	s_and_b64 s[22:23], s[24:25], exec
	s_orn2_b64 s[20:21], s[20:21], exec
.LBB4_8:
	s_or_b64 exec, exec, s[2:3]
	s_andn2_b64 s[0:1], vcc, exec
	s_and_b64 s[20:21], s[20:21], exec
	s_and_b64 s[2:3], s[22:23], exec
	s_or_b64 vcc, s[0:1], s[20:21]
	s_or_b64 exec, exec, s[6:7]
	s_and_saveexec_b64 s[6:7], vcc
	s_cbranch_execz .LBB4_2
.LBB4_9:
	v_add_u32_e32 v1, 0x100, v4
	v_cmp_gt_i32_e32 vcc, s12, v1
	s_mov_b64 s[0:1], s[2:3]
	s_and_saveexec_b64 s[12:13], vcc
	s_cbranch_execz .LBB4_15
; %bb.10:
	v_ashrrev_i32_e32 v5, 31, v4
	v_lshlrev_b64 v[4:5], 2, v[4:5]
	v_mov_b32_e32 v1, s15
	v_add_co_u32_e32 v6, vcc, s14, v4
	v_addc_co_u32_e32 v7, vcc, v1, v5, vcc
	global_load_dword v1, v[6:7], off offset:1024 glc slc
	s_mov_b32 s0, 0x800000
	s_mov_b64 s[14:15], s[2:3]
	s_waitcnt vmcnt(0)
	v_cmp_gt_f32_e32 vcc, 0, v1
	v_cndmask_b32_e64 v6, v1, -v1, vcc
	v_cmp_lt_f32_e32 vcc, s27, v6
	v_cmp_lt_f32_e64 s[0:1], s0, v6
	s_and_b64 s[20:21], vcc, s[0:1]
	v_cndmask_b32_e64 v6, 0, 1, s[20:21]
	v_cmp_ne_u32_e32 vcc, 0, v6
	s_and_saveexec_b64 s[0:1], s[20:21]
	s_cbranch_execz .LBB4_14
; %bb.11:
	v_and_b32_e32 v3, vcc_hi, v3
	v_and_b32_e32 v2, vcc_lo, v2
	v_cmp_ne_u64_e32 vcc, 0, v[2:3]
	s_mov_b64 s[20:21], -1
	s_and_saveexec_b64 s[14:15], vcc
	s_xor_b64 s[14:15], exec, s[14:15]
	s_cbranch_execz .LBB4_13
; %bb.12:
	v_mov_b32_e32 v7, 0
	v_add_u32_e32 v6, 4, v0
	v_lshlrev_b64 v[8:9], 2, v[6:7]
	v_mov_b32_e32 v0, s19
	v_add_co_u32_e32 v8, vcc, s18, v8
	v_addc_co_u32_e32 v9, vcc, v0, v9, vcc
	v_mov_b32_e32 v0, s17
	v_add_co_u32_e32 v4, vcc, s16, v4
	v_addc_co_u32_e32 v5, vcc, v0, v5, vcc
	global_load_dword v0, v[4:5], off offset:1024
	global_load_dword v6, v[8:9], off
	v_bcnt_u32_b32 v2, v2, 0
	v_bcnt_u32_b32 v2, v3, v2
	v_mov_b32_e32 v5, s9
	v_mov_b32_e32 v8, s11
	s_xor_b64 s[20:21], exec, -1
	s_waitcnt vmcnt(1)
	v_add_u32_e32 v0, s26, v0
	s_waitcnt vmcnt(0)
	v_add3_u32 v6, v2, v6, -1
	v_lshlrev_b64 v[2:3], 2, v[6:7]
	v_add_co_u32_e32 v4, vcc, s8, v2
	v_addc_co_u32_e32 v5, vcc, v5, v3, vcc
	v_add_co_u32_e32 v2, vcc, s10, v2
	v_addc_co_u32_e32 v3, vcc, v8, v3, vcc
	global_store_dword v[4:5], v1, off
	global_store_dword v[2:3], v0, off
.LBB4_13:
	s_or_b64 exec, exec, s[14:15]
	s_andn2_b64 s[8:9], s[2:3], exec
	s_and_b64 s[10:11], s[20:21], exec
	s_or_b64 s[14:15], s[8:9], s[10:11]
.LBB4_14:
	s_or_b64 exec, exec, s[0:1]
	s_andn2_b64 s[0:1], s[2:3], exec
	s_and_b64 s[8:9], s[14:15], exec
	s_or_b64 s[0:1], s[0:1], s[8:9]
.LBB4_15:
	s_or_b64 exec, exec, s[12:13]
	s_andn2_b64 s[2:3], s[2:3], exec
	s_and_b64 s[0:1], s[0:1], exec
	s_or_b64 s[2:3], s[2:3], s[0:1]
	s_or_b64 exec, exec, s[6:7]
	s_and_saveexec_b64 s[0:1], s[2:3]
	s_xor_b64 s[0:1], exec, s[0:1]
	s_cbranch_execz .LBB4_3
.LBB4_16:
	s_load_dwordx2 s[2:3], s[4:5], 0x90
	v_mbcnt_lo_u32_b32 v0, -1, 0
	v_mbcnt_hi_u32_b32 v32, -1, v0
	v_readfirstlane_b32 s0, v32
	v_mov_b32_e32 v5, 0
	v_mov_b32_e32 v6, 0
	v_cmp_eq_u32_e64 s[0:1], s0, v32
	s_and_saveexec_b64 s[4:5], s[0:1]
	s_cbranch_execz .LBB4_22
; %bb.17:
	v_mov_b32_e32 v0, 0
	s_waitcnt lgkmcnt(0)
	global_load_dwordx2 v[3:4], v0, s[2:3] offset:24 glc
	s_waitcnt vmcnt(0)
	buffer_wbinvl1_vol
	global_load_dwordx2 v[1:2], v0, s[2:3] offset:40
	global_load_dwordx2 v[5:6], v0, s[2:3]
	s_waitcnt vmcnt(1)
	v_and_b32_e32 v1, v1, v3
	v_and_b32_e32 v2, v2, v4
	v_mul_lo_u32 v2, v2, 24
	v_mul_hi_u32 v7, v1, 24
	v_mul_lo_u32 v1, v1, 24
	v_add_u32_e32 v2, v7, v2
	s_waitcnt vmcnt(0)
	v_add_co_u32_e32 v1, vcc, v5, v1
	v_addc_co_u32_e32 v2, vcc, v6, v2, vcc
	global_load_dwordx2 v[1:2], v[1:2], off glc
	s_waitcnt vmcnt(0)
	global_atomic_cmpswap_x2 v[5:6], v0, v[1:4], s[2:3] offset:24 glc
	s_waitcnt vmcnt(0)
	buffer_wbinvl1_vol
	v_cmp_ne_u64_e32 vcc, v[5:6], v[3:4]
	s_and_saveexec_b64 s[6:7], vcc
	s_cbranch_execz .LBB4_21
; %bb.18:
	s_mov_b64 s[8:9], 0
.LBB4_19:                               ; =>This Inner Loop Header: Depth=1
	s_sleep 1
	global_load_dwordx2 v[1:2], v0, s[2:3] offset:40
	global_load_dwordx2 v[7:8], v0, s[2:3]
	v_mov_b32_e32 v3, v5
	v_mov_b32_e32 v4, v6
	s_waitcnt vmcnt(1)
	v_and_b32_e32 v1, v1, v3
	s_waitcnt vmcnt(0)
	v_mad_u64_u32 v[5:6], s[10:11], v1, 24, v[7:8]
	v_and_b32_e32 v2, v2, v4
	v_mov_b32_e32 v1, v6
	v_mad_u64_u32 v[1:2], s[10:11], v2, 24, v[1:2]
	v_mov_b32_e32 v6, v1
	global_load_dwordx2 v[1:2], v[5:6], off glc
	s_waitcnt vmcnt(0)
	global_atomic_cmpswap_x2 v[5:6], v0, v[1:4], s[2:3] offset:24 glc
	s_waitcnt vmcnt(0)
	buffer_wbinvl1_vol
	v_cmp_eq_u64_e32 vcc, v[5:6], v[3:4]
	s_or_b64 s[8:9], vcc, s[8:9]
	s_andn2_b64 exec, exec, s[8:9]
	s_cbranch_execnz .LBB4_19
; %bb.20:
	s_or_b64 exec, exec, s[8:9]
.LBB4_21:
	s_or_b64 exec, exec, s[6:7]
.LBB4_22:
	s_or_b64 exec, exec, s[4:5]
	v_mov_b32_e32 v4, 0
	s_waitcnt lgkmcnt(0)
	global_load_dwordx2 v[7:8], v4, s[2:3] offset:40
	global_load_dwordx4 v[0:3], v4, s[2:3]
	v_readfirstlane_b32 s5, v6
	v_readfirstlane_b32 s4, v5
	s_mov_b64 s[6:7], exec
	s_waitcnt vmcnt(1)
	v_readfirstlane_b32 s8, v7
	v_readfirstlane_b32 s9, v8
	s_and_b64 s[8:9], s[8:9], s[4:5]
	s_mul_i32 s10, s9, 24
	s_mul_hi_u32 s11, s8, 24
	s_mul_i32 s12, s8, 24
	s_add_i32 s10, s11, s10
	v_mov_b32_e32 v5, s10
	s_waitcnt vmcnt(0)
	v_add_co_u32_e32 v7, vcc, s12, v0
	v_addc_co_u32_e32 v8, vcc, v1, v5, vcc
	s_and_saveexec_b64 s[10:11], s[0:1]
	s_cbranch_execz .LBB4_24
; %bb.23:
	v_mov_b32_e32 v10, s7
	v_mov_b32_e32 v9, s6
	;; [unrolled: 1-line block ×4, first 2 shown]
	global_store_dwordx4 v[7:8], v[9:12], off offset:8
.LBB4_24:
	s_or_b64 exec, exec, s[10:11]
	s_lshl_b64 s[6:7], s[8:9], 12
	v_mov_b32_e32 v5, s7
	v_add_co_u32_e32 v2, vcc, s6, v2
	v_addc_co_u32_e32 v11, vcc, v3, v5, vcc
	v_lshlrev_b32_e32 v31, 6, v32
	s_mov_b32 s8, 0
	v_mov_b32_e32 v3, 33
	v_mov_b32_e32 v5, v4
	;; [unrolled: 1-line block ×3, first 2 shown]
	v_readfirstlane_b32 s6, v2
	v_readfirstlane_b32 s7, v11
	v_add_co_u32_e32 v9, vcc, v2, v31
	s_mov_b32 s9, s8
	s_mov_b32 s10, s8
	;; [unrolled: 1-line block ×3, first 2 shown]
	s_nop 0
	global_store_dwordx4 v31, v[3:6], s[6:7]
	v_mov_b32_e32 v2, s8
	v_addc_co_u32_e32 v10, vcc, 0, v11, vcc
	v_mov_b32_e32 v3, s9
	v_mov_b32_e32 v4, s10
	;; [unrolled: 1-line block ×3, first 2 shown]
	global_store_dwordx4 v31, v[2:5], s[6:7] offset:16
	global_store_dwordx4 v31, v[2:5], s[6:7] offset:32
	;; [unrolled: 1-line block ×3, first 2 shown]
	s_and_saveexec_b64 s[6:7], s[0:1]
	s_cbranch_execz .LBB4_32
; %bb.25:
	v_mov_b32_e32 v6, 0
	global_load_dwordx2 v[13:14], v6, s[2:3] offset:32 glc
	global_load_dwordx2 v[2:3], v6, s[2:3] offset:40
	v_mov_b32_e32 v11, s4
	v_mov_b32_e32 v12, s5
	s_waitcnt vmcnt(0)
	v_and_b32_e32 v2, s4, v2
	v_and_b32_e32 v3, s5, v3
	v_mul_lo_u32 v3, v3, 24
	v_mul_hi_u32 v4, v2, 24
	v_mul_lo_u32 v2, v2, 24
	v_add_u32_e32 v3, v4, v3
	v_add_co_u32_e32 v4, vcc, v0, v2
	v_addc_co_u32_e32 v5, vcc, v1, v3, vcc
	global_store_dwordx2 v[4:5], v[13:14], off
	s_waitcnt vmcnt(0)
	global_atomic_cmpswap_x2 v[2:3], v6, v[11:14], s[2:3] offset:32 glc
	s_waitcnt vmcnt(0)
	v_cmp_ne_u64_e32 vcc, v[2:3], v[13:14]
	s_and_saveexec_b64 s[8:9], vcc
	s_cbranch_execz .LBB4_28
; %bb.26:
	s_mov_b64 s[10:11], 0
.LBB4_27:                               ; =>This Inner Loop Header: Depth=1
	s_sleep 1
	global_store_dwordx2 v[4:5], v[2:3], off
	v_mov_b32_e32 v0, s4
	v_mov_b32_e32 v1, s5
	s_waitcnt vmcnt(0)
	global_atomic_cmpswap_x2 v[0:1], v6, v[0:3], s[2:3] offset:32 glc
	s_waitcnt vmcnt(0)
	v_cmp_eq_u64_e32 vcc, v[0:1], v[2:3]
	v_mov_b32_e32 v3, v1
	s_or_b64 s[10:11], vcc, s[10:11]
	v_mov_b32_e32 v2, v0
	s_andn2_b64 exec, exec, s[10:11]
	s_cbranch_execnz .LBB4_27
.LBB4_28:
	s_or_b64 exec, exec, s[8:9]
	v_mov_b32_e32 v3, 0
	global_load_dwordx2 v[0:1], v3, s[2:3] offset:16
	s_mov_b64 s[8:9], exec
	v_mbcnt_lo_u32_b32 v2, s8, 0
	v_mbcnt_hi_u32_b32 v2, s9, v2
	v_cmp_eq_u32_e32 vcc, 0, v2
	s_and_saveexec_b64 s[10:11], vcc
	s_cbranch_execz .LBB4_30
; %bb.29:
	s_bcnt1_i32_b64 s8, s[8:9]
	v_mov_b32_e32 v2, s8
	s_waitcnt vmcnt(0)
	global_atomic_add_x2 v[0:1], v[2:3], off offset:8
.LBB4_30:
	s_or_b64 exec, exec, s[10:11]
	s_waitcnt vmcnt(0)
	global_load_dwordx2 v[2:3], v[0:1], off offset:16
	s_waitcnt vmcnt(0)
	v_cmp_eq_u64_e32 vcc, 0, v[2:3]
	s_cbranch_vccnz .LBB4_32
; %bb.31:
	global_load_dword v0, v[0:1], off offset:24
	v_mov_b32_e32 v1, 0
	s_waitcnt vmcnt(0)
	v_readfirstlane_b32 s8, v0
	s_and_b32 m0, s8, 0xffffff
	global_store_dwordx2 v[2:3], v[0:1], off
	s_sendmsg sendmsg(MSG_INTERRUPT)
.LBB4_32:
	s_or_b64 exec, exec, s[6:7]
	s_branch .LBB4_36
.LBB4_33:                               ;   in Loop: Header=BB4_36 Depth=1
	s_or_b64 exec, exec, s[6:7]
	v_readfirstlane_b32 s6, v0
	s_cmp_eq_u32 s6, 0
	s_cbranch_scc1 .LBB4_35
; %bb.34:                               ;   in Loop: Header=BB4_36 Depth=1
	s_sleep 1
	s_cbranch_execnz .LBB4_36
	s_branch .LBB4_38
.LBB4_35:
	s_branch .LBB4_38
.LBB4_36:                               ; =>This Inner Loop Header: Depth=1
	v_mov_b32_e32 v0, 1
	s_and_saveexec_b64 s[6:7], s[0:1]
	s_cbranch_execz .LBB4_33
; %bb.37:                               ;   in Loop: Header=BB4_36 Depth=1
	global_load_dword v0, v[7:8], off offset:20 glc
	s_waitcnt vmcnt(0)
	buffer_wbinvl1_vol
	v_and_b32_e32 v0, 1, v0
	s_branch .LBB4_33
.LBB4_38:
	global_load_dwordx2 v[0:1], v[9:10], off
	s_and_saveexec_b64 s[6:7], s[0:1]
	s_cbranch_execz .LBB4_41
; %bb.39:
	v_mov_b32_e32 v8, 0
	global_load_dwordx2 v[2:3], v8, s[2:3] offset:40
	global_load_dwordx2 v[11:12], v8, s[2:3] offset:24 glc
	global_load_dwordx2 v[4:5], v8, s[2:3]
	s_waitcnt vmcnt(2)
	v_readfirstlane_b32 s8, v2
	v_readfirstlane_b32 s9, v3
	s_add_u32 s10, s8, 1
	s_addc_u32 s11, s9, 0
	s_add_u32 s0, s10, s4
	s_addc_u32 s1, s11, s5
	s_cmp_eq_u64 s[0:1], 0
	s_cselect_b32 s1, s11, s1
	s_cselect_b32 s0, s10, s0
	s_and_b64 s[4:5], s[0:1], s[8:9]
	s_mul_i32 s5, s5, 24
	s_mul_hi_u32 s8, s4, 24
	s_mul_i32 s4, s4, 24
	s_add_i32 s5, s8, s5
	v_mov_b32_e32 v2, s5
	s_waitcnt vmcnt(0)
	v_add_co_u32_e32 v6, vcc, s4, v4
	v_addc_co_u32_e32 v7, vcc, v5, v2, vcc
	v_mov_b32_e32 v9, s0
	global_store_dwordx2 v[6:7], v[11:12], off
	v_mov_b32_e32 v10, s1
	s_waitcnt vmcnt(0)
	global_atomic_cmpswap_x2 v[4:5], v8, v[9:12], s[2:3] offset:24 glc
	s_mov_b64 s[4:5], 0
	s_waitcnt vmcnt(0)
	v_cmp_ne_u64_e32 vcc, v[4:5], v[11:12]
	s_and_b64 exec, exec, vcc
	s_cbranch_execz .LBB4_41
.LBB4_40:                               ; =>This Inner Loop Header: Depth=1
	s_sleep 1
	global_store_dwordx2 v[6:7], v[4:5], off
	v_mov_b32_e32 v2, s0
	v_mov_b32_e32 v3, s1
	s_waitcnt vmcnt(0)
	global_atomic_cmpswap_x2 v[2:3], v8, v[2:5], s[2:3] offset:24 glc
	s_waitcnt vmcnt(0)
	v_cmp_eq_u64_e32 vcc, v[2:3], v[4:5]
	v_mov_b32_e32 v5, v3
	s_or_b64 s[4:5], vcc, s[4:5]
	v_mov_b32_e32 v4, v2
	s_andn2_b64 exec, exec, s[4:5]
	s_cbranch_execnz .LBB4_40
.LBB4_41:
	s_or_b64 exec, exec, s[6:7]
	s_getpc_b64 s[4:5]
	s_add_u32 s4, s4, .str.2@rel32@lo+4
	s_addc_u32 s5, s5, .str.2@rel32@hi+12
	s_cmp_lg_u64 s[4:5], 0
	s_cselect_b64 s[0:1], -1, 0
	s_cmp_eq_u64 s[4:5], 0
	s_mov_b64 s[4:5], 0
	s_cbranch_scc1 .LBB4_45
; %bb.42:
	v_mov_b32_e32 v2, 0
	s_getpc_b64 s[4:5]
	s_add_u32 s4, s4, .str.2@rel32@lo+3
	s_addc_u32 s5, s5, .str.2@rel32@hi+11
.LBB4_43:                               ; =>This Inner Loop Header: Depth=1
	global_load_ubyte v3, v2, s[4:5] offset:1
	s_add_u32 s6, s4, 1
	s_addc_u32 s7, s5, 0
	s_mov_b64 s[4:5], s[6:7]
	s_waitcnt vmcnt(0)
	v_cmp_ne_u32_e32 vcc, 0, v3
	s_cbranch_vccnz .LBB4_43
; %bb.44:
	s_getpc_b64 s[4:5]
	s_add_u32 s4, s4, .str.2@rel32@lo+4
	s_addc_u32 s5, s5, .str.2@rel32@hi+12
	s_sub_u32 s4, s6, s4
	s_subb_u32 s5, s7, s5
	s_add_u32 s4, s4, 1
	s_addc_u32 s5, s5, 0
.LBB4_45:
	s_and_b64 vcc, exec, s[0:1]
	s_cbranch_vccz .LBB4_130
; %bb.46:
	s_waitcnt vmcnt(0)
	v_and_b32_e32 v33, 2, v0
	v_mov_b32_e32 v28, 0
	v_and_b32_e32 v4, -3, v0
	v_mov_b32_e32 v5, v1
	v_mov_b32_e32 v10, 2
	;; [unrolled: 1-line block ×3, first 2 shown]
	s_getpc_b64 s[6:7]
	s_add_u32 s6, s6, .str.2@rel32@lo+4
	s_addc_u32 s7, s7, .str.2@rel32@hi+12
	s_branch .LBB4_48
.LBB4_47:                               ;   in Loop: Header=BB4_48 Depth=1
	s_or_b64 exec, exec, s[12:13]
	s_sub_u32 s4, s4, s8
	s_subb_u32 s5, s5, s9
	s_add_u32 s6, s6, s8
	s_addc_u32 s7, s7, s9
	s_cmp_lg_u64 s[4:5], 0
	s_cbranch_scc0 .LBB4_131
.LBB4_48:                               ; =>This Loop Header: Depth=1
                                        ;     Child Loop BB4_51 Depth 2
                                        ;     Child Loop BB4_59 Depth 2
	;; [unrolled: 1-line block ×11, first 2 shown]
	v_cmp_lt_u64_e64 s[0:1], s[4:5], 56
	v_cmp_gt_u64_e64 s[10:11], s[4:5], 7
	s_and_b64 s[0:1], s[0:1], exec
	s_cselect_b32 s9, s5, 0
	s_cselect_b32 s8, s4, 56
	s_add_u32 s0, s6, 8
	s_addc_u32 s1, s7, 0
	s_and_b64 vcc, exec, s[10:11]
	s_cbranch_vccnz .LBB4_52
; %bb.49:                               ;   in Loop: Header=BB4_48 Depth=1
	s_cmp_eq_u64 s[4:5], 0
	s_cbranch_scc1 .LBB4_53
; %bb.50:                               ;   in Loop: Header=BB4_48 Depth=1
	v_mov_b32_e32 v6, 0
	s_lshl_b64 s[0:1], s[8:9], 3
	s_mov_b64 s[10:11], 0
	v_mov_b32_e32 v7, 0
	s_mov_b64 s[12:13], s[6:7]
.LBB4_51:                               ;   Parent Loop BB4_48 Depth=1
                                        ; =>  This Inner Loop Header: Depth=2
	global_load_ubyte v2, v28, s[12:13]
	s_waitcnt vmcnt(0)
	v_and_b32_e32 v27, 0xffff, v2
	v_lshlrev_b64 v[2:3], s10, v[27:28]
	s_add_u32 s10, s10, 8
	s_addc_u32 s11, s11, 0
	s_add_u32 s12, s12, 1
	s_addc_u32 s13, s13, 0
	v_or_b32_e32 v6, v2, v6
	s_cmp_lg_u32 s0, s10
	v_or_b32_e32 v7, v3, v7
	s_cbranch_scc1 .LBB4_51
	s_branch .LBB4_54
.LBB4_52:                               ;   in Loop: Header=BB4_48 Depth=1
	s_mov_b32 s14, 0
	s_branch .LBB4_55
.LBB4_53:                               ;   in Loop: Header=BB4_48 Depth=1
	v_mov_b32_e32 v6, 0
	v_mov_b32_e32 v7, 0
.LBB4_54:                               ;   in Loop: Header=BB4_48 Depth=1
	s_mov_b64 s[0:1], s[6:7]
	s_mov_b32 s14, 0
	s_cbranch_execnz .LBB4_56
.LBB4_55:                               ;   in Loop: Header=BB4_48 Depth=1
	global_load_dwordx2 v[6:7], v28, s[6:7]
	s_add_i32 s14, s8, -8
.LBB4_56:                               ;   in Loop: Header=BB4_48 Depth=1
	s_add_u32 s10, s0, 8
	s_addc_u32 s11, s1, 0
	s_cmp_gt_u32 s14, 7
	s_cbranch_scc1 .LBB4_60
; %bb.57:                               ;   in Loop: Header=BB4_48 Depth=1
	s_cmp_eq_u32 s14, 0
	s_cbranch_scc1 .LBB4_61
; %bb.58:                               ;   in Loop: Header=BB4_48 Depth=1
	v_mov_b32_e32 v12, 0
	s_mov_b64 s[10:11], 0
	v_mov_b32_e32 v13, 0
	s_mov_b64 s[12:13], 0
.LBB4_59:                               ;   Parent Loop BB4_48 Depth=1
                                        ; =>  This Inner Loop Header: Depth=2
	s_add_u32 s16, s0, s12
	s_addc_u32 s17, s1, s13
	global_load_ubyte v2, v28, s[16:17]
	s_add_u32 s12, s12, 1
	s_addc_u32 s13, s13, 0
	s_waitcnt vmcnt(0)
	v_and_b32_e32 v27, 0xffff, v2
	v_lshlrev_b64 v[2:3], s10, v[27:28]
	s_add_u32 s10, s10, 8
	s_addc_u32 s11, s11, 0
	v_or_b32_e32 v12, v2, v12
	s_cmp_lg_u32 s14, s12
	v_or_b32_e32 v13, v3, v13
	s_cbranch_scc1 .LBB4_59
	s_branch .LBB4_62
.LBB4_60:                               ;   in Loop: Header=BB4_48 Depth=1
                                        ; implicit-def: $vgpr12_vgpr13
	s_mov_b32 s15, 0
	s_branch .LBB4_63
.LBB4_61:                               ;   in Loop: Header=BB4_48 Depth=1
	v_mov_b32_e32 v12, 0
	v_mov_b32_e32 v13, 0
.LBB4_62:                               ;   in Loop: Header=BB4_48 Depth=1
	s_mov_b64 s[10:11], s[0:1]
	s_mov_b32 s15, 0
	s_cbranch_execnz .LBB4_64
.LBB4_63:                               ;   in Loop: Header=BB4_48 Depth=1
	global_load_dwordx2 v[12:13], v28, s[0:1]
	s_add_i32 s15, s14, -8
.LBB4_64:                               ;   in Loop: Header=BB4_48 Depth=1
	s_add_u32 s0, s10, 8
	s_addc_u32 s1, s11, 0
	s_cmp_gt_u32 s15, 7
	s_cbranch_scc1 .LBB4_68
; %bb.65:                               ;   in Loop: Header=BB4_48 Depth=1
	s_cmp_eq_u32 s15, 0
	s_cbranch_scc1 .LBB4_69
; %bb.66:                               ;   in Loop: Header=BB4_48 Depth=1
	v_mov_b32_e32 v14, 0
	s_mov_b64 s[0:1], 0
	v_mov_b32_e32 v15, 0
	s_mov_b64 s[12:13], 0
.LBB4_67:                               ;   Parent Loop BB4_48 Depth=1
                                        ; =>  This Inner Loop Header: Depth=2
	s_add_u32 s16, s10, s12
	s_addc_u32 s17, s11, s13
	global_load_ubyte v2, v28, s[16:17]
	s_add_u32 s12, s12, 1
	s_addc_u32 s13, s13, 0
	s_waitcnt vmcnt(0)
	v_and_b32_e32 v27, 0xffff, v2
	v_lshlrev_b64 v[2:3], s0, v[27:28]
	s_add_u32 s0, s0, 8
	s_addc_u32 s1, s1, 0
	v_or_b32_e32 v14, v2, v14
	s_cmp_lg_u32 s15, s12
	v_or_b32_e32 v15, v3, v15
	s_cbranch_scc1 .LBB4_67
	s_branch .LBB4_70
.LBB4_68:                               ;   in Loop: Header=BB4_48 Depth=1
	s_mov_b32 s14, 0
	s_branch .LBB4_71
.LBB4_69:                               ;   in Loop: Header=BB4_48 Depth=1
	v_mov_b32_e32 v14, 0
	v_mov_b32_e32 v15, 0
.LBB4_70:                               ;   in Loop: Header=BB4_48 Depth=1
	s_mov_b64 s[0:1], s[10:11]
	s_mov_b32 s14, 0
	s_cbranch_execnz .LBB4_72
.LBB4_71:                               ;   in Loop: Header=BB4_48 Depth=1
	global_load_dwordx2 v[14:15], v28, s[10:11]
	s_add_i32 s14, s15, -8
.LBB4_72:                               ;   in Loop: Header=BB4_48 Depth=1
	s_add_u32 s10, s0, 8
	s_addc_u32 s11, s1, 0
	s_cmp_gt_u32 s14, 7
	s_cbranch_scc1 .LBB4_76
; %bb.73:                               ;   in Loop: Header=BB4_48 Depth=1
	s_cmp_eq_u32 s14, 0
	s_cbranch_scc1 .LBB4_77
; %bb.74:                               ;   in Loop: Header=BB4_48 Depth=1
	v_mov_b32_e32 v16, 0
	s_mov_b64 s[10:11], 0
	v_mov_b32_e32 v17, 0
	s_mov_b64 s[12:13], 0
.LBB4_75:                               ;   Parent Loop BB4_48 Depth=1
                                        ; =>  This Inner Loop Header: Depth=2
	s_add_u32 s16, s0, s12
	s_addc_u32 s17, s1, s13
	global_load_ubyte v2, v28, s[16:17]
	s_add_u32 s12, s12, 1
	s_addc_u32 s13, s13, 0
	s_waitcnt vmcnt(0)
	v_and_b32_e32 v27, 0xffff, v2
	v_lshlrev_b64 v[2:3], s10, v[27:28]
	s_add_u32 s10, s10, 8
	s_addc_u32 s11, s11, 0
	v_or_b32_e32 v16, v2, v16
	s_cmp_lg_u32 s14, s12
	v_or_b32_e32 v17, v3, v17
	s_cbranch_scc1 .LBB4_75
	s_branch .LBB4_78
.LBB4_76:                               ;   in Loop: Header=BB4_48 Depth=1
                                        ; implicit-def: $vgpr16_vgpr17
	s_mov_b32 s15, 0
	s_branch .LBB4_79
.LBB4_77:                               ;   in Loop: Header=BB4_48 Depth=1
	v_mov_b32_e32 v16, 0
	v_mov_b32_e32 v17, 0
.LBB4_78:                               ;   in Loop: Header=BB4_48 Depth=1
	s_mov_b64 s[10:11], s[0:1]
	s_mov_b32 s15, 0
	s_cbranch_execnz .LBB4_80
.LBB4_79:                               ;   in Loop: Header=BB4_48 Depth=1
	global_load_dwordx2 v[16:17], v28, s[0:1]
	s_add_i32 s15, s14, -8
.LBB4_80:                               ;   in Loop: Header=BB4_48 Depth=1
	s_add_u32 s0, s10, 8
	s_addc_u32 s1, s11, 0
	s_cmp_gt_u32 s15, 7
	s_cbranch_scc1 .LBB4_84
; %bb.81:                               ;   in Loop: Header=BB4_48 Depth=1
	s_cmp_eq_u32 s15, 0
	s_cbranch_scc1 .LBB4_85
; %bb.82:                               ;   in Loop: Header=BB4_48 Depth=1
	v_mov_b32_e32 v18, 0
	s_mov_b64 s[0:1], 0
	v_mov_b32_e32 v19, 0
	s_mov_b64 s[12:13], 0
.LBB4_83:                               ;   Parent Loop BB4_48 Depth=1
                                        ; =>  This Inner Loop Header: Depth=2
	s_add_u32 s16, s10, s12
	s_addc_u32 s17, s11, s13
	global_load_ubyte v2, v28, s[16:17]
	s_add_u32 s12, s12, 1
	s_addc_u32 s13, s13, 0
	s_waitcnt vmcnt(0)
	v_and_b32_e32 v27, 0xffff, v2
	v_lshlrev_b64 v[2:3], s0, v[27:28]
	s_add_u32 s0, s0, 8
	s_addc_u32 s1, s1, 0
	v_or_b32_e32 v18, v2, v18
	s_cmp_lg_u32 s15, s12
	v_or_b32_e32 v19, v3, v19
	s_cbranch_scc1 .LBB4_83
	s_branch .LBB4_86
.LBB4_84:                               ;   in Loop: Header=BB4_48 Depth=1
	s_mov_b32 s14, 0
	s_branch .LBB4_87
.LBB4_85:                               ;   in Loop: Header=BB4_48 Depth=1
	v_mov_b32_e32 v18, 0
	v_mov_b32_e32 v19, 0
.LBB4_86:                               ;   in Loop: Header=BB4_48 Depth=1
	s_mov_b64 s[0:1], s[10:11]
	s_mov_b32 s14, 0
	s_cbranch_execnz .LBB4_88
.LBB4_87:                               ;   in Loop: Header=BB4_48 Depth=1
	global_load_dwordx2 v[18:19], v28, s[10:11]
	s_add_i32 s14, s15, -8
.LBB4_88:                               ;   in Loop: Header=BB4_48 Depth=1
	s_add_u32 s10, s0, 8
	s_addc_u32 s11, s1, 0
	s_cmp_gt_u32 s14, 7
	s_cbranch_scc1 .LBB4_92
; %bb.89:                               ;   in Loop: Header=BB4_48 Depth=1
	s_cmp_eq_u32 s14, 0
	s_cbranch_scc1 .LBB4_93
; %bb.90:                               ;   in Loop: Header=BB4_48 Depth=1
	v_mov_b32_e32 v20, 0
	s_mov_b64 s[10:11], 0
	v_mov_b32_e32 v21, 0
	s_mov_b64 s[12:13], 0
.LBB4_91:                               ;   Parent Loop BB4_48 Depth=1
                                        ; =>  This Inner Loop Header: Depth=2
	s_add_u32 s16, s0, s12
	s_addc_u32 s17, s1, s13
	global_load_ubyte v2, v28, s[16:17]
	s_add_u32 s12, s12, 1
	s_addc_u32 s13, s13, 0
	s_waitcnt vmcnt(0)
	v_and_b32_e32 v27, 0xffff, v2
	v_lshlrev_b64 v[2:3], s10, v[27:28]
	s_add_u32 s10, s10, 8
	s_addc_u32 s11, s11, 0
	v_or_b32_e32 v20, v2, v20
	s_cmp_lg_u32 s14, s12
	v_or_b32_e32 v21, v3, v21
	s_cbranch_scc1 .LBB4_91
	s_branch .LBB4_94
.LBB4_92:                               ;   in Loop: Header=BB4_48 Depth=1
                                        ; implicit-def: $vgpr20_vgpr21
	s_mov_b32 s15, 0
	s_branch .LBB4_95
.LBB4_93:                               ;   in Loop: Header=BB4_48 Depth=1
	v_mov_b32_e32 v20, 0
	v_mov_b32_e32 v21, 0
.LBB4_94:                               ;   in Loop: Header=BB4_48 Depth=1
	s_mov_b64 s[10:11], s[0:1]
	s_mov_b32 s15, 0
	s_cbranch_execnz .LBB4_96
.LBB4_95:                               ;   in Loop: Header=BB4_48 Depth=1
	global_load_dwordx2 v[20:21], v28, s[0:1]
	s_add_i32 s15, s14, -8
.LBB4_96:                               ;   in Loop: Header=BB4_48 Depth=1
	s_cmp_gt_u32 s15, 7
	s_cbranch_scc1 .LBB4_100
; %bb.97:                               ;   in Loop: Header=BB4_48 Depth=1
	s_cmp_eq_u32 s15, 0
	s_cbranch_scc1 .LBB4_101
; %bb.98:                               ;   in Loop: Header=BB4_48 Depth=1
	v_mov_b32_e32 v22, 0
	s_mov_b64 s[0:1], 0
	v_mov_b32_e32 v23, 0
	s_mov_b64 s[12:13], s[10:11]
.LBB4_99:                               ;   Parent Loop BB4_48 Depth=1
                                        ; =>  This Inner Loop Header: Depth=2
	global_load_ubyte v2, v28, s[12:13]
	s_add_i32 s15, s15, -1
	s_waitcnt vmcnt(0)
	v_and_b32_e32 v27, 0xffff, v2
	v_lshlrev_b64 v[2:3], s0, v[27:28]
	s_add_u32 s0, s0, 8
	s_addc_u32 s1, s1, 0
	s_add_u32 s12, s12, 1
	s_addc_u32 s13, s13, 0
	v_or_b32_e32 v22, v2, v22
	s_cmp_lg_u32 s15, 0
	v_or_b32_e32 v23, v3, v23
	s_cbranch_scc1 .LBB4_99
	s_branch .LBB4_102
.LBB4_100:                              ;   in Loop: Header=BB4_48 Depth=1
	s_branch .LBB4_103
.LBB4_101:                              ;   in Loop: Header=BB4_48 Depth=1
	v_mov_b32_e32 v22, 0
	v_mov_b32_e32 v23, 0
.LBB4_102:                              ;   in Loop: Header=BB4_48 Depth=1
	s_cbranch_execnz .LBB4_104
.LBB4_103:                              ;   in Loop: Header=BB4_48 Depth=1
	global_load_dwordx2 v[22:23], v28, s[10:11]
.LBB4_104:                              ;   in Loop: Header=BB4_48 Depth=1
	v_readfirstlane_b32 s0, v32
	v_mov_b32_e32 v2, 0
	v_mov_b32_e32 v3, 0
	v_cmp_eq_u32_e64 s[0:1], s0, v32
	s_and_saveexec_b64 s[10:11], s[0:1]
	s_cbranch_execz .LBB4_110
; %bb.105:                              ;   in Loop: Header=BB4_48 Depth=1
	global_load_dwordx2 v[26:27], v28, s[2:3] offset:24 glc
	s_waitcnt vmcnt(0)
	buffer_wbinvl1_vol
	global_load_dwordx2 v[2:3], v28, s[2:3] offset:40
	global_load_dwordx2 v[8:9], v28, s[2:3]
	s_waitcnt vmcnt(1)
	v_and_b32_e32 v2, v2, v26
	v_and_b32_e32 v3, v3, v27
	v_mul_lo_u32 v3, v3, 24
	v_mul_hi_u32 v24, v2, 24
	v_mul_lo_u32 v2, v2, 24
	v_add_u32_e32 v3, v24, v3
	s_waitcnt vmcnt(0)
	v_add_co_u32_e32 v2, vcc, v8, v2
	v_addc_co_u32_e32 v3, vcc, v9, v3, vcc
	global_load_dwordx2 v[24:25], v[2:3], off glc
	s_waitcnt vmcnt(0)
	global_atomic_cmpswap_x2 v[2:3], v28, v[24:27], s[2:3] offset:24 glc
	s_waitcnt vmcnt(0)
	buffer_wbinvl1_vol
	v_cmp_ne_u64_e32 vcc, v[2:3], v[26:27]
	s_and_saveexec_b64 s[12:13], vcc
	s_cbranch_execz .LBB4_109
; %bb.106:                              ;   in Loop: Header=BB4_48 Depth=1
	s_mov_b64 s[14:15], 0
.LBB4_107:                              ;   Parent Loop BB4_48 Depth=1
                                        ; =>  This Inner Loop Header: Depth=2
	s_sleep 1
	global_load_dwordx2 v[8:9], v28, s[2:3] offset:40
	global_load_dwordx2 v[24:25], v28, s[2:3]
	v_mov_b32_e32 v27, v3
	v_mov_b32_e32 v26, v2
	s_waitcnt vmcnt(1)
	v_and_b32_e32 v2, v8, v26
	s_waitcnt vmcnt(0)
	v_mad_u64_u32 v[2:3], s[16:17], v2, 24, v[24:25]
	v_and_b32_e32 v8, v9, v27
	v_mad_u64_u32 v[8:9], s[16:17], v8, 24, v[3:4]
	v_mov_b32_e32 v3, v8
	global_load_dwordx2 v[24:25], v[2:3], off glc
	s_waitcnt vmcnt(0)
	global_atomic_cmpswap_x2 v[2:3], v28, v[24:27], s[2:3] offset:24 glc
	s_waitcnt vmcnt(0)
	buffer_wbinvl1_vol
	v_cmp_eq_u64_e32 vcc, v[2:3], v[26:27]
	s_or_b64 s[14:15], vcc, s[14:15]
	s_andn2_b64 exec, exec, s[14:15]
	s_cbranch_execnz .LBB4_107
; %bb.108:                              ;   in Loop: Header=BB4_48 Depth=1
	s_or_b64 exec, exec, s[14:15]
.LBB4_109:                              ;   in Loop: Header=BB4_48 Depth=1
	s_or_b64 exec, exec, s[12:13]
.LBB4_110:                              ;   in Loop: Header=BB4_48 Depth=1
	s_or_b64 exec, exec, s[10:11]
	global_load_dwordx2 v[8:9], v28, s[2:3] offset:40
	global_load_dwordx4 v[24:27], v28, s[2:3]
	v_readfirstlane_b32 s11, v3
	v_readfirstlane_b32 s10, v2
	s_mov_b64 s[12:13], exec
	s_waitcnt vmcnt(1)
	v_readfirstlane_b32 s14, v8
	v_readfirstlane_b32 s15, v9
	s_and_b64 s[14:15], s[14:15], s[10:11]
	s_mul_i32 s16, s15, 24
	s_mul_hi_u32 s17, s14, 24
	s_mul_i32 s18, s14, 24
	s_add_i32 s16, s17, s16
	v_mov_b32_e32 v2, s16
	s_waitcnt vmcnt(0)
	v_add_co_u32_e32 v29, vcc, s18, v24
	v_addc_co_u32_e32 v30, vcc, v25, v2, vcc
	s_and_saveexec_b64 s[16:17], s[0:1]
	s_cbranch_execz .LBB4_112
; %bb.111:                              ;   in Loop: Header=BB4_48 Depth=1
	v_mov_b32_e32 v8, s12
	v_mov_b32_e32 v9, s13
	global_store_dwordx4 v[29:30], v[8:11], off offset:8
.LBB4_112:                              ;   in Loop: Header=BB4_48 Depth=1
	s_or_b64 exec, exec, s[16:17]
	s_lshl_b64 s[12:13], s[14:15], 12
	v_mov_b32_e32 v2, s13
	v_add_co_u32_e32 v8, vcc, s12, v26
	v_addc_co_u32_e32 v9, vcc, v27, v2, vcc
	v_cmp_lt_u64_e64 vcc, s[4:5], 57
	s_lshl_b32 s12, s8, 2
	v_cndmask_b32_e32 v2, 0, v33, vcc
	s_add_i32 s12, s12, 28
	v_and_b32_e32 v3, 0xffffff1f, v4
	s_and_b32 s12, s12, 0x1e0
	v_or_b32_e32 v2, v3, v2
	v_or_b32_e32 v4, s12, v2
	v_readfirstlane_b32 s12, v8
	v_readfirstlane_b32 s13, v9
	s_nop 4
	global_store_dwordx4 v31, v[4:7], s[12:13]
	global_store_dwordx4 v31, v[12:15], s[12:13] offset:16
	global_store_dwordx4 v31, v[16:19], s[12:13] offset:32
	global_store_dwordx4 v31, v[20:23], s[12:13] offset:48
	s_and_saveexec_b64 s[12:13], s[0:1]
	s_cbranch_execz .LBB4_120
; %bb.113:                              ;   in Loop: Header=BB4_48 Depth=1
	global_load_dwordx2 v[14:15], v28, s[2:3] offset:32 glc
	global_load_dwordx2 v[2:3], v28, s[2:3] offset:40
	v_mov_b32_e32 v12, s10
	v_mov_b32_e32 v13, s11
	s_waitcnt vmcnt(0)
	v_readfirstlane_b32 s14, v2
	v_readfirstlane_b32 s15, v3
	s_and_b64 s[14:15], s[14:15], s[10:11]
	s_mul_i32 s15, s15, 24
	s_mul_hi_u32 s16, s14, 24
	s_mul_i32 s14, s14, 24
	s_add_i32 s15, s16, s15
	v_mov_b32_e32 v2, s15
	v_add_co_u32_e32 v6, vcc, s14, v24
	v_addc_co_u32_e32 v7, vcc, v25, v2, vcc
	global_store_dwordx2 v[6:7], v[14:15], off
	s_waitcnt vmcnt(0)
	global_atomic_cmpswap_x2 v[4:5], v28, v[12:15], s[2:3] offset:32 glc
	s_waitcnt vmcnt(0)
	v_cmp_ne_u64_e32 vcc, v[4:5], v[14:15]
	s_and_saveexec_b64 s[14:15], vcc
	s_cbranch_execz .LBB4_116
; %bb.114:                              ;   in Loop: Header=BB4_48 Depth=1
	s_mov_b64 s[16:17], 0
.LBB4_115:                              ;   Parent Loop BB4_48 Depth=1
                                        ; =>  This Inner Loop Header: Depth=2
	s_sleep 1
	global_store_dwordx2 v[6:7], v[4:5], off
	v_mov_b32_e32 v2, s10
	v_mov_b32_e32 v3, s11
	s_waitcnt vmcnt(0)
	global_atomic_cmpswap_x2 v[2:3], v28, v[2:5], s[2:3] offset:32 glc
	s_waitcnt vmcnt(0)
	v_cmp_eq_u64_e32 vcc, v[2:3], v[4:5]
	v_mov_b32_e32 v5, v3
	s_or_b64 s[16:17], vcc, s[16:17]
	v_mov_b32_e32 v4, v2
	s_andn2_b64 exec, exec, s[16:17]
	s_cbranch_execnz .LBB4_115
.LBB4_116:                              ;   in Loop: Header=BB4_48 Depth=1
	s_or_b64 exec, exec, s[14:15]
	global_load_dwordx2 v[2:3], v28, s[2:3] offset:16
	s_mov_b64 s[16:17], exec
	v_mbcnt_lo_u32_b32 v4, s16, 0
	v_mbcnt_hi_u32_b32 v4, s17, v4
	v_cmp_eq_u32_e32 vcc, 0, v4
	s_and_saveexec_b64 s[14:15], vcc
	s_cbranch_execz .LBB4_118
; %bb.117:                              ;   in Loop: Header=BB4_48 Depth=1
	s_bcnt1_i32_b64 s16, s[16:17]
	v_mov_b32_e32 v27, s16
	s_waitcnt vmcnt(0)
	global_atomic_add_x2 v[2:3], v[27:28], off offset:8
.LBB4_118:                              ;   in Loop: Header=BB4_48 Depth=1
	s_or_b64 exec, exec, s[14:15]
	s_waitcnt vmcnt(0)
	global_load_dwordx2 v[4:5], v[2:3], off offset:16
	s_waitcnt vmcnt(0)
	v_cmp_eq_u64_e32 vcc, 0, v[4:5]
	s_cbranch_vccnz .LBB4_120
; %bb.119:                              ;   in Loop: Header=BB4_48 Depth=1
	global_load_dword v27, v[2:3], off offset:24
	s_waitcnt vmcnt(0)
	v_readfirstlane_b32 s14, v27
	s_and_b32 m0, s14, 0xffffff
	global_store_dwordx2 v[4:5], v[27:28], off
	s_sendmsg sendmsg(MSG_INTERRUPT)
.LBB4_120:                              ;   in Loop: Header=BB4_48 Depth=1
	s_or_b64 exec, exec, s[12:13]
	v_add_co_u32_e32 v2, vcc, v8, v31
	v_addc_co_u32_e32 v3, vcc, 0, v9, vcc
	s_branch .LBB4_124
.LBB4_121:                              ;   in Loop: Header=BB4_124 Depth=2
	s_or_b64 exec, exec, s[12:13]
	v_readfirstlane_b32 s12, v4
	s_cmp_eq_u32 s12, 0
	s_cbranch_scc1 .LBB4_123
; %bb.122:                              ;   in Loop: Header=BB4_124 Depth=2
	s_sleep 1
	s_cbranch_execnz .LBB4_124
	s_branch .LBB4_126
.LBB4_123:                              ;   in Loop: Header=BB4_48 Depth=1
	s_branch .LBB4_126
.LBB4_124:                              ;   Parent Loop BB4_48 Depth=1
                                        ; =>  This Inner Loop Header: Depth=2
	v_mov_b32_e32 v4, 1
	s_and_saveexec_b64 s[12:13], s[0:1]
	s_cbranch_execz .LBB4_121
; %bb.125:                              ;   in Loop: Header=BB4_124 Depth=2
	global_load_dword v4, v[29:30], off offset:20 glc
	s_waitcnt vmcnt(0)
	buffer_wbinvl1_vol
	v_and_b32_e32 v4, 1, v4
	s_branch .LBB4_121
.LBB4_126:                              ;   in Loop: Header=BB4_48 Depth=1
	global_load_dwordx2 v[4:5], v[2:3], off
	s_and_saveexec_b64 s[12:13], s[0:1]
	s_cbranch_execz .LBB4_47
; %bb.127:                              ;   in Loop: Header=BB4_48 Depth=1
	global_load_dwordx2 v[2:3], v28, s[2:3] offset:40
	global_load_dwordx2 v[14:15], v28, s[2:3] offset:24 glc
	global_load_dwordx2 v[6:7], v28, s[2:3]
	s_waitcnt vmcnt(2)
	v_readfirstlane_b32 s14, v2
	v_readfirstlane_b32 s15, v3
	s_add_u32 s16, s14, 1
	s_addc_u32 s17, s15, 0
	s_add_u32 s0, s16, s10
	s_addc_u32 s1, s17, s11
	s_cmp_eq_u64 s[0:1], 0
	s_cselect_b32 s1, s17, s1
	s_cselect_b32 s0, s16, s0
	s_and_b64 s[10:11], s[0:1], s[14:15]
	s_mul_i32 s11, s11, 24
	s_mul_hi_u32 s14, s10, 24
	s_mul_i32 s10, s10, 24
	s_add_i32 s11, s14, s11
	v_mov_b32_e32 v3, s11
	s_waitcnt vmcnt(0)
	v_add_co_u32_e32 v2, vcc, s10, v6
	v_addc_co_u32_e32 v3, vcc, v7, v3, vcc
	v_mov_b32_e32 v12, s0
	global_store_dwordx2 v[2:3], v[14:15], off
	v_mov_b32_e32 v13, s1
	s_waitcnt vmcnt(0)
	global_atomic_cmpswap_x2 v[8:9], v28, v[12:15], s[2:3] offset:24 glc
	s_waitcnt vmcnt(0)
	v_cmp_ne_u64_e32 vcc, v[8:9], v[14:15]
	s_and_b64 exec, exec, vcc
	s_cbranch_execz .LBB4_47
; %bb.128:                              ;   in Loop: Header=BB4_48 Depth=1
	s_mov_b64 s[10:11], 0
.LBB4_129:                              ;   Parent Loop BB4_48 Depth=1
                                        ; =>  This Inner Loop Header: Depth=2
	s_sleep 1
	global_store_dwordx2 v[2:3], v[8:9], off
	v_mov_b32_e32 v6, s0
	v_mov_b32_e32 v7, s1
	s_waitcnt vmcnt(0)
	global_atomic_cmpswap_x2 v[6:7], v28, v[6:9], s[2:3] offset:24 glc
	s_waitcnt vmcnt(0)
	v_cmp_eq_u64_e32 vcc, v[6:7], v[8:9]
	v_mov_b32_e32 v9, v7
	s_or_b64 s[10:11], vcc, s[10:11]
	v_mov_b32_e32 v8, v6
	s_andn2_b64 exec, exec, s[10:11]
	s_cbranch_execnz .LBB4_129
	s_branch .LBB4_47
.LBB4_130:
	s_mov_b64 s[0:1], -1
                                        ; implicit-def: $vgpr4_vgpr5
	s_branch .LBB4_132
.LBB4_131:
	s_mov_b64 s[0:1], 0
.LBB4_132:
	s_and_b64 vcc, exec, s[0:1]
	s_cbranch_vccz .LBB4_159
; %bb.133:
	v_readfirstlane_b32 s0, v32
	v_mov_b32_e32 v8, 0
	v_mov_b32_e32 v9, 0
	v_cmp_eq_u32_e64 s[0:1], s0, v32
	s_and_saveexec_b64 s[4:5], s[0:1]
	s_cbranch_execz .LBB4_139
; %bb.134:
	v_mov_b32_e32 v2, 0
	global_load_dwordx2 v[5:6], v2, s[2:3] offset:24 glc
	s_waitcnt vmcnt(0)
	buffer_wbinvl1_vol
	global_load_dwordx2 v[3:4], v2, s[2:3] offset:40
	global_load_dwordx2 v[7:8], v2, s[2:3]
	s_waitcnt vmcnt(1)
	v_and_b32_e32 v3, v3, v5
	v_and_b32_e32 v4, v4, v6
	v_mul_lo_u32 v4, v4, 24
	v_mul_hi_u32 v9, v3, 24
	v_mul_lo_u32 v3, v3, 24
	v_add_u32_e32 v4, v9, v4
	s_waitcnt vmcnt(0)
	v_add_co_u32_e32 v3, vcc, v7, v3
	v_addc_co_u32_e32 v4, vcc, v8, v4, vcc
	global_load_dwordx2 v[3:4], v[3:4], off glc
	s_waitcnt vmcnt(0)
	global_atomic_cmpswap_x2 v[8:9], v2, v[3:6], s[2:3] offset:24 glc
	s_waitcnt vmcnt(0)
	buffer_wbinvl1_vol
	v_cmp_ne_u64_e32 vcc, v[8:9], v[5:6]
	s_and_saveexec_b64 s[6:7], vcc
	s_cbranch_execz .LBB4_138
; %bb.135:
	s_mov_b64 s[8:9], 0
.LBB4_136:                              ; =>This Inner Loop Header: Depth=1
	s_sleep 1
	global_load_dwordx2 v[3:4], v2, s[2:3] offset:40
	global_load_dwordx2 v[10:11], v2, s[2:3]
	v_mov_b32_e32 v5, v8
	v_mov_b32_e32 v6, v9
	s_waitcnt vmcnt(1)
	v_and_b32_e32 v3, v3, v5
	s_waitcnt vmcnt(0)
	v_mad_u64_u32 v[7:8], s[10:11], v3, 24, v[10:11]
	v_and_b32_e32 v4, v4, v6
	v_mov_b32_e32 v3, v8
	v_mad_u64_u32 v[3:4], s[10:11], v4, 24, v[3:4]
	v_mov_b32_e32 v8, v3
	global_load_dwordx2 v[3:4], v[7:8], off glc
	s_waitcnt vmcnt(0)
	global_atomic_cmpswap_x2 v[8:9], v2, v[3:6], s[2:3] offset:24 glc
	s_waitcnt vmcnt(0)
	buffer_wbinvl1_vol
	v_cmp_eq_u64_e32 vcc, v[8:9], v[5:6]
	s_or_b64 s[8:9], vcc, s[8:9]
	s_andn2_b64 exec, exec, s[8:9]
	s_cbranch_execnz .LBB4_136
; %bb.137:
	s_or_b64 exec, exec, s[8:9]
.LBB4_138:
	s_or_b64 exec, exec, s[6:7]
.LBB4_139:
	s_or_b64 exec, exec, s[4:5]
	v_mov_b32_e32 v2, 0
	global_load_dwordx2 v[10:11], v2, s[2:3] offset:40
	global_load_dwordx4 v[4:7], v2, s[2:3]
	v_readfirstlane_b32 s5, v9
	v_readfirstlane_b32 s4, v8
	s_mov_b64 s[6:7], exec
	s_waitcnt vmcnt(1)
	v_readfirstlane_b32 s8, v10
	v_readfirstlane_b32 s9, v11
	s_and_b64 s[8:9], s[8:9], s[4:5]
	s_mul_i32 s10, s9, 24
	s_mul_hi_u32 s11, s8, 24
	s_mul_i32 s12, s8, 24
	s_add_i32 s10, s11, s10
	v_mov_b32_e32 v3, s10
	s_waitcnt vmcnt(0)
	v_add_co_u32_e32 v8, vcc, s12, v4
	v_addc_co_u32_e32 v9, vcc, v5, v3, vcc
	s_and_saveexec_b64 s[10:11], s[0:1]
	s_cbranch_execz .LBB4_141
; %bb.140:
	v_mov_b32_e32 v11, s7
	v_mov_b32_e32 v10, s6
	;; [unrolled: 1-line block ×4, first 2 shown]
	global_store_dwordx4 v[8:9], v[10:13], off offset:8
.LBB4_141:
	s_or_b64 exec, exec, s[10:11]
	s_lshl_b64 s[6:7], s[8:9], 12
	v_mov_b32_e32 v3, s7
	v_add_co_u32_e32 v10, vcc, s6, v6
	v_addc_co_u32_e32 v11, vcc, v7, v3, vcc
	s_movk_i32 s6, 0xff1f
	v_and_or_b32 v0, v0, s6, 32
	s_mov_b32 s8, 0
	v_mov_b32_e32 v3, v2
	v_readfirstlane_b32 s6, v10
	v_readfirstlane_b32 s7, v11
	v_add_co_u32_e32 v6, vcc, v10, v31
	s_mov_b32 s9, s8
	s_mov_b32 s10, s8
	;; [unrolled: 1-line block ×3, first 2 shown]
	s_nop 0
	global_store_dwordx4 v31, v[0:3], s[6:7]
	v_addc_co_u32_e32 v7, vcc, 0, v11, vcc
	v_mov_b32_e32 v0, s8
	v_mov_b32_e32 v1, s9
	;; [unrolled: 1-line block ×4, first 2 shown]
	global_store_dwordx4 v31, v[0:3], s[6:7] offset:16
	global_store_dwordx4 v31, v[0:3], s[6:7] offset:32
	;; [unrolled: 1-line block ×3, first 2 shown]
	s_and_saveexec_b64 s[6:7], s[0:1]
	s_cbranch_execz .LBB4_149
; %bb.142:
	v_mov_b32_e32 v10, 0
	global_load_dwordx2 v[13:14], v10, s[2:3] offset:32 glc
	global_load_dwordx2 v[0:1], v10, s[2:3] offset:40
	v_mov_b32_e32 v11, s4
	v_mov_b32_e32 v12, s5
	s_waitcnt vmcnt(0)
	v_readfirstlane_b32 s8, v0
	v_readfirstlane_b32 s9, v1
	s_and_b64 s[8:9], s[8:9], s[4:5]
	s_mul_i32 s9, s9, 24
	s_mul_hi_u32 s10, s8, 24
	s_mul_i32 s8, s8, 24
	s_add_i32 s9, s10, s9
	v_mov_b32_e32 v0, s9
	v_add_co_u32_e32 v4, vcc, s8, v4
	v_addc_co_u32_e32 v5, vcc, v5, v0, vcc
	global_store_dwordx2 v[4:5], v[13:14], off
	s_waitcnt vmcnt(0)
	global_atomic_cmpswap_x2 v[2:3], v10, v[11:14], s[2:3] offset:32 glc
	s_waitcnt vmcnt(0)
	v_cmp_ne_u64_e32 vcc, v[2:3], v[13:14]
	s_and_saveexec_b64 s[8:9], vcc
	s_cbranch_execz .LBB4_145
; %bb.143:
	s_mov_b64 s[10:11], 0
.LBB4_144:                              ; =>This Inner Loop Header: Depth=1
	s_sleep 1
	global_store_dwordx2 v[4:5], v[2:3], off
	v_mov_b32_e32 v0, s4
	v_mov_b32_e32 v1, s5
	s_waitcnt vmcnt(0)
	global_atomic_cmpswap_x2 v[0:1], v10, v[0:3], s[2:3] offset:32 glc
	s_waitcnt vmcnt(0)
	v_cmp_eq_u64_e32 vcc, v[0:1], v[2:3]
	v_mov_b32_e32 v3, v1
	s_or_b64 s[10:11], vcc, s[10:11]
	v_mov_b32_e32 v2, v0
	s_andn2_b64 exec, exec, s[10:11]
	s_cbranch_execnz .LBB4_144
.LBB4_145:
	s_or_b64 exec, exec, s[8:9]
	v_mov_b32_e32 v3, 0
	global_load_dwordx2 v[0:1], v3, s[2:3] offset:16
	s_mov_b64 s[8:9], exec
	v_mbcnt_lo_u32_b32 v2, s8, 0
	v_mbcnt_hi_u32_b32 v2, s9, v2
	v_cmp_eq_u32_e32 vcc, 0, v2
	s_and_saveexec_b64 s[10:11], vcc
	s_cbranch_execz .LBB4_147
; %bb.146:
	s_bcnt1_i32_b64 s8, s[8:9]
	v_mov_b32_e32 v2, s8
	s_waitcnt vmcnt(0)
	global_atomic_add_x2 v[0:1], v[2:3], off offset:8
.LBB4_147:
	s_or_b64 exec, exec, s[10:11]
	s_waitcnt vmcnt(0)
	global_load_dwordx2 v[2:3], v[0:1], off offset:16
	s_waitcnt vmcnt(0)
	v_cmp_eq_u64_e32 vcc, 0, v[2:3]
	s_cbranch_vccnz .LBB4_149
; %bb.148:
	global_load_dword v0, v[0:1], off offset:24
	v_mov_b32_e32 v1, 0
	s_waitcnt vmcnt(0)
	v_readfirstlane_b32 s8, v0
	s_and_b32 m0, s8, 0xffffff
	global_store_dwordx2 v[2:3], v[0:1], off
	s_sendmsg sendmsg(MSG_INTERRUPT)
.LBB4_149:
	s_or_b64 exec, exec, s[6:7]
	s_branch .LBB4_153
.LBB4_150:                              ;   in Loop: Header=BB4_153 Depth=1
	s_or_b64 exec, exec, s[6:7]
	v_readfirstlane_b32 s6, v0
	s_cmp_eq_u32 s6, 0
	s_cbranch_scc1 .LBB4_152
; %bb.151:                              ;   in Loop: Header=BB4_153 Depth=1
	s_sleep 1
	s_cbranch_execnz .LBB4_153
	s_branch .LBB4_155
.LBB4_152:
	s_branch .LBB4_155
.LBB4_153:                              ; =>This Inner Loop Header: Depth=1
	v_mov_b32_e32 v0, 1
	s_and_saveexec_b64 s[6:7], s[0:1]
	s_cbranch_execz .LBB4_150
; %bb.154:                              ;   in Loop: Header=BB4_153 Depth=1
	global_load_dword v0, v[8:9], off offset:20 glc
	s_waitcnt vmcnt(0)
	buffer_wbinvl1_vol
	v_and_b32_e32 v0, 1, v0
	s_branch .LBB4_150
.LBB4_155:
	global_load_dwordx2 v[4:5], v[6:7], off
	s_and_saveexec_b64 s[6:7], s[0:1]
	s_cbranch_execz .LBB4_158
; %bb.156:
	v_mov_b32_e32 v8, 0
	global_load_dwordx2 v[0:1], v8, s[2:3] offset:40
	global_load_dwordx2 v[11:12], v8, s[2:3] offset:24 glc
	global_load_dwordx2 v[2:3], v8, s[2:3]
	s_waitcnt vmcnt(2)
	v_readfirstlane_b32 s8, v0
	v_readfirstlane_b32 s9, v1
	s_add_u32 s10, s8, 1
	s_addc_u32 s11, s9, 0
	s_add_u32 s0, s10, s4
	s_addc_u32 s1, s11, s5
	s_cmp_eq_u64 s[0:1], 0
	s_cselect_b32 s1, s11, s1
	s_cselect_b32 s0, s10, s0
	s_and_b64 s[4:5], s[0:1], s[8:9]
	s_mul_i32 s5, s5, 24
	s_mul_hi_u32 s8, s4, 24
	s_mul_i32 s4, s4, 24
	s_add_i32 s5, s8, s5
	v_mov_b32_e32 v0, s5
	s_waitcnt vmcnt(0)
	v_add_co_u32_e32 v6, vcc, s4, v2
	v_addc_co_u32_e32 v7, vcc, v3, v0, vcc
	v_mov_b32_e32 v9, s0
	global_store_dwordx2 v[6:7], v[11:12], off
	v_mov_b32_e32 v10, s1
	s_waitcnt vmcnt(0)
	global_atomic_cmpswap_x2 v[2:3], v8, v[9:12], s[2:3] offset:24 glc
	s_mov_b64 s[4:5], 0
	s_waitcnt vmcnt(0)
	v_cmp_ne_u64_e32 vcc, v[2:3], v[11:12]
	s_and_b64 exec, exec, vcc
	s_cbranch_execz .LBB4_158
.LBB4_157:                              ; =>This Inner Loop Header: Depth=1
	s_sleep 1
	global_store_dwordx2 v[6:7], v[2:3], off
	v_mov_b32_e32 v0, s0
	v_mov_b32_e32 v1, s1
	s_waitcnt vmcnt(0)
	global_atomic_cmpswap_x2 v[0:1], v8, v[0:3], s[2:3] offset:24 glc
	s_waitcnt vmcnt(0)
	v_cmp_eq_u64_e32 vcc, v[0:1], v[2:3]
	v_mov_b32_e32 v3, v1
	s_or_b64 s[4:5], vcc, s[4:5]
	v_mov_b32_e32 v2, v0
	s_andn2_b64 exec, exec, s[4:5]
	s_cbranch_execnz .LBB4_157
.LBB4_158:
	s_or_b64 exec, exec, s[6:7]
.LBB4_159:
	s_getpc_b64 s[4:5]
	s_add_u32 s4, s4, .str.1@rel32@lo+4
	s_addc_u32 s5, s5, .str.1@rel32@hi+12
	s_cmp_lg_u64 s[4:5], 0
	s_cbranch_scc0 .LBB4_244
; %bb.160:
	s_waitcnt vmcnt(0)
	v_and_b32_e32 v29, 2, v4
	v_mov_b32_e32 v26, 0
	v_and_b32_e32 v0, -3, v4
	v_mov_b32_e32 v1, v5
	s_mov_b64 s[6:7], 0x61
	v_mov_b32_e32 v8, 2
	v_mov_b32_e32 v9, 1
	s_branch .LBB4_162
.LBB4_161:                              ;   in Loop: Header=BB4_162 Depth=1
	s_or_b64 exec, exec, s[12:13]
	s_sub_u32 s6, s6, s8
	s_subb_u32 s7, s7, s9
	s_add_u32 s4, s4, s8
	s_addc_u32 s5, s5, s9
	s_cmp_lg_u64 s[6:7], 0
	s_cbranch_scc0 .LBB4_245
.LBB4_162:                              ; =>This Loop Header: Depth=1
                                        ;     Child Loop BB4_165 Depth 2
                                        ;     Child Loop BB4_173 Depth 2
	;; [unrolled: 1-line block ×11, first 2 shown]
	v_cmp_lt_u64_e64 s[0:1], s[6:7], 56
	v_cmp_gt_u64_e64 s[10:11], s[6:7], 7
	s_and_b64 s[0:1], s[0:1], exec
	s_cselect_b32 s9, s7, 0
	s_cselect_b32 s8, s6, 56
	s_add_u32 s0, s4, 8
	s_addc_u32 s1, s5, 0
	s_and_b64 vcc, exec, s[10:11]
	s_cbranch_vccnz .LBB4_166
; %bb.163:                              ;   in Loop: Header=BB4_162 Depth=1
	s_cmp_eq_u64 s[6:7], 0
	s_cbranch_scc1 .LBB4_167
; %bb.164:                              ;   in Loop: Header=BB4_162 Depth=1
	v_mov_b32_e32 v2, 0
	s_lshl_b64 s[0:1], s[8:9], 3
	s_mov_b64 s[10:11], 0
	v_mov_b32_e32 v3, 0
	s_mov_b64 s[12:13], s[4:5]
.LBB4_165:                              ;   Parent Loop BB4_162 Depth=1
                                        ; =>  This Inner Loop Header: Depth=2
	global_load_ubyte v6, v26, s[12:13]
	s_waitcnt vmcnt(0)
	v_and_b32_e32 v25, 0xffff, v6
	v_lshlrev_b64 v[6:7], s10, v[25:26]
	s_add_u32 s10, s10, 8
	s_addc_u32 s11, s11, 0
	s_add_u32 s12, s12, 1
	s_addc_u32 s13, s13, 0
	v_or_b32_e32 v2, v6, v2
	s_cmp_lg_u32 s0, s10
	v_or_b32_e32 v3, v7, v3
	s_cbranch_scc1 .LBB4_165
	s_branch .LBB4_168
.LBB4_166:                              ;   in Loop: Header=BB4_162 Depth=1
	s_mov_b32 s14, 0
	s_branch .LBB4_169
.LBB4_167:                              ;   in Loop: Header=BB4_162 Depth=1
	v_mov_b32_e32 v2, 0
	v_mov_b32_e32 v3, 0
.LBB4_168:                              ;   in Loop: Header=BB4_162 Depth=1
	s_mov_b64 s[0:1], s[4:5]
	s_mov_b32 s14, 0
	s_cbranch_execnz .LBB4_170
.LBB4_169:                              ;   in Loop: Header=BB4_162 Depth=1
	global_load_dwordx2 v[2:3], v26, s[4:5]
	s_add_i32 s14, s8, -8
.LBB4_170:                              ;   in Loop: Header=BB4_162 Depth=1
	s_add_u32 s10, s0, 8
	s_addc_u32 s11, s1, 0
	s_cmp_gt_u32 s14, 7
	s_cbranch_scc1 .LBB4_174
; %bb.171:                              ;   in Loop: Header=BB4_162 Depth=1
	s_cmp_eq_u32 s14, 0
	s_cbranch_scc1 .LBB4_175
; %bb.172:                              ;   in Loop: Header=BB4_162 Depth=1
	v_mov_b32_e32 v10, 0
	s_mov_b64 s[10:11], 0
	v_mov_b32_e32 v11, 0
	s_mov_b64 s[12:13], 0
.LBB4_173:                              ;   Parent Loop BB4_162 Depth=1
                                        ; =>  This Inner Loop Header: Depth=2
	s_add_u32 s16, s0, s12
	s_addc_u32 s17, s1, s13
	global_load_ubyte v6, v26, s[16:17]
	s_add_u32 s12, s12, 1
	s_addc_u32 s13, s13, 0
	s_waitcnt vmcnt(0)
	v_and_b32_e32 v25, 0xffff, v6
	v_lshlrev_b64 v[6:7], s10, v[25:26]
	s_add_u32 s10, s10, 8
	s_addc_u32 s11, s11, 0
	v_or_b32_e32 v10, v6, v10
	s_cmp_lg_u32 s14, s12
	v_or_b32_e32 v11, v7, v11
	s_cbranch_scc1 .LBB4_173
	s_branch .LBB4_176
.LBB4_174:                              ;   in Loop: Header=BB4_162 Depth=1
                                        ; implicit-def: $vgpr10_vgpr11
	s_mov_b32 s15, 0
	s_branch .LBB4_177
.LBB4_175:                              ;   in Loop: Header=BB4_162 Depth=1
	v_mov_b32_e32 v10, 0
	v_mov_b32_e32 v11, 0
.LBB4_176:                              ;   in Loop: Header=BB4_162 Depth=1
	s_mov_b64 s[10:11], s[0:1]
	s_mov_b32 s15, 0
	s_cbranch_execnz .LBB4_178
.LBB4_177:                              ;   in Loop: Header=BB4_162 Depth=1
	global_load_dwordx2 v[10:11], v26, s[0:1]
	s_add_i32 s15, s14, -8
.LBB4_178:                              ;   in Loop: Header=BB4_162 Depth=1
	s_add_u32 s0, s10, 8
	s_addc_u32 s1, s11, 0
	s_cmp_gt_u32 s15, 7
	s_cbranch_scc1 .LBB4_182
; %bb.179:                              ;   in Loop: Header=BB4_162 Depth=1
	s_cmp_eq_u32 s15, 0
	s_cbranch_scc1 .LBB4_183
; %bb.180:                              ;   in Loop: Header=BB4_162 Depth=1
	v_mov_b32_e32 v12, 0
	s_mov_b64 s[0:1], 0
	v_mov_b32_e32 v13, 0
	s_mov_b64 s[12:13], 0
.LBB4_181:                              ;   Parent Loop BB4_162 Depth=1
                                        ; =>  This Inner Loop Header: Depth=2
	s_add_u32 s16, s10, s12
	s_addc_u32 s17, s11, s13
	global_load_ubyte v6, v26, s[16:17]
	s_add_u32 s12, s12, 1
	s_addc_u32 s13, s13, 0
	s_waitcnt vmcnt(0)
	v_and_b32_e32 v25, 0xffff, v6
	v_lshlrev_b64 v[6:7], s0, v[25:26]
	s_add_u32 s0, s0, 8
	s_addc_u32 s1, s1, 0
	v_or_b32_e32 v12, v6, v12
	s_cmp_lg_u32 s15, s12
	v_or_b32_e32 v13, v7, v13
	s_cbranch_scc1 .LBB4_181
	s_branch .LBB4_184
.LBB4_182:                              ;   in Loop: Header=BB4_162 Depth=1
	s_mov_b32 s14, 0
	s_branch .LBB4_185
.LBB4_183:                              ;   in Loop: Header=BB4_162 Depth=1
	v_mov_b32_e32 v12, 0
	v_mov_b32_e32 v13, 0
.LBB4_184:                              ;   in Loop: Header=BB4_162 Depth=1
	s_mov_b64 s[0:1], s[10:11]
	s_mov_b32 s14, 0
	s_cbranch_execnz .LBB4_186
.LBB4_185:                              ;   in Loop: Header=BB4_162 Depth=1
	global_load_dwordx2 v[12:13], v26, s[10:11]
	s_add_i32 s14, s15, -8
.LBB4_186:                              ;   in Loop: Header=BB4_162 Depth=1
	s_add_u32 s10, s0, 8
	s_addc_u32 s11, s1, 0
	s_cmp_gt_u32 s14, 7
	s_cbranch_scc1 .LBB4_190
; %bb.187:                              ;   in Loop: Header=BB4_162 Depth=1
	s_cmp_eq_u32 s14, 0
	s_cbranch_scc1 .LBB4_191
; %bb.188:                              ;   in Loop: Header=BB4_162 Depth=1
	v_mov_b32_e32 v14, 0
	s_mov_b64 s[10:11], 0
	v_mov_b32_e32 v15, 0
	s_mov_b64 s[12:13], 0
.LBB4_189:                              ;   Parent Loop BB4_162 Depth=1
                                        ; =>  This Inner Loop Header: Depth=2
	s_add_u32 s16, s0, s12
	s_addc_u32 s17, s1, s13
	global_load_ubyte v6, v26, s[16:17]
	s_add_u32 s12, s12, 1
	s_addc_u32 s13, s13, 0
	s_waitcnt vmcnt(0)
	v_and_b32_e32 v25, 0xffff, v6
	v_lshlrev_b64 v[6:7], s10, v[25:26]
	s_add_u32 s10, s10, 8
	s_addc_u32 s11, s11, 0
	v_or_b32_e32 v14, v6, v14
	s_cmp_lg_u32 s14, s12
	v_or_b32_e32 v15, v7, v15
	s_cbranch_scc1 .LBB4_189
	s_branch .LBB4_192
.LBB4_190:                              ;   in Loop: Header=BB4_162 Depth=1
                                        ; implicit-def: $vgpr14_vgpr15
	s_mov_b32 s15, 0
	s_branch .LBB4_193
.LBB4_191:                              ;   in Loop: Header=BB4_162 Depth=1
	v_mov_b32_e32 v14, 0
	v_mov_b32_e32 v15, 0
.LBB4_192:                              ;   in Loop: Header=BB4_162 Depth=1
	s_mov_b64 s[10:11], s[0:1]
	s_mov_b32 s15, 0
	s_cbranch_execnz .LBB4_194
.LBB4_193:                              ;   in Loop: Header=BB4_162 Depth=1
	global_load_dwordx2 v[14:15], v26, s[0:1]
	s_add_i32 s15, s14, -8
.LBB4_194:                              ;   in Loop: Header=BB4_162 Depth=1
	s_add_u32 s0, s10, 8
	s_addc_u32 s1, s11, 0
	s_cmp_gt_u32 s15, 7
	s_cbranch_scc1 .LBB4_198
; %bb.195:                              ;   in Loop: Header=BB4_162 Depth=1
	s_cmp_eq_u32 s15, 0
	s_cbranch_scc1 .LBB4_199
; %bb.196:                              ;   in Loop: Header=BB4_162 Depth=1
	v_mov_b32_e32 v16, 0
	s_mov_b64 s[0:1], 0
	v_mov_b32_e32 v17, 0
	s_mov_b64 s[12:13], 0
.LBB4_197:                              ;   Parent Loop BB4_162 Depth=1
                                        ; =>  This Inner Loop Header: Depth=2
	s_add_u32 s16, s10, s12
	s_addc_u32 s17, s11, s13
	global_load_ubyte v6, v26, s[16:17]
	s_add_u32 s12, s12, 1
	s_addc_u32 s13, s13, 0
	s_waitcnt vmcnt(0)
	v_and_b32_e32 v25, 0xffff, v6
	v_lshlrev_b64 v[6:7], s0, v[25:26]
	s_add_u32 s0, s0, 8
	s_addc_u32 s1, s1, 0
	v_or_b32_e32 v16, v6, v16
	s_cmp_lg_u32 s15, s12
	v_or_b32_e32 v17, v7, v17
	s_cbranch_scc1 .LBB4_197
	s_branch .LBB4_200
.LBB4_198:                              ;   in Loop: Header=BB4_162 Depth=1
	s_mov_b32 s14, 0
	s_branch .LBB4_201
.LBB4_199:                              ;   in Loop: Header=BB4_162 Depth=1
	v_mov_b32_e32 v16, 0
	v_mov_b32_e32 v17, 0
.LBB4_200:                              ;   in Loop: Header=BB4_162 Depth=1
	s_mov_b64 s[0:1], s[10:11]
	s_mov_b32 s14, 0
	s_cbranch_execnz .LBB4_202
.LBB4_201:                              ;   in Loop: Header=BB4_162 Depth=1
	global_load_dwordx2 v[16:17], v26, s[10:11]
	s_add_i32 s14, s15, -8
.LBB4_202:                              ;   in Loop: Header=BB4_162 Depth=1
	s_add_u32 s10, s0, 8
	s_addc_u32 s11, s1, 0
	s_cmp_gt_u32 s14, 7
	s_cbranch_scc1 .LBB4_206
; %bb.203:                              ;   in Loop: Header=BB4_162 Depth=1
	s_cmp_eq_u32 s14, 0
	s_cbranch_scc1 .LBB4_207
; %bb.204:                              ;   in Loop: Header=BB4_162 Depth=1
	v_mov_b32_e32 v18, 0
	s_mov_b64 s[10:11], 0
	v_mov_b32_e32 v19, 0
	s_mov_b64 s[12:13], 0
.LBB4_205:                              ;   Parent Loop BB4_162 Depth=1
                                        ; =>  This Inner Loop Header: Depth=2
	s_add_u32 s16, s0, s12
	s_addc_u32 s17, s1, s13
	global_load_ubyte v6, v26, s[16:17]
	s_add_u32 s12, s12, 1
	s_addc_u32 s13, s13, 0
	s_waitcnt vmcnt(0)
	v_and_b32_e32 v25, 0xffff, v6
	v_lshlrev_b64 v[6:7], s10, v[25:26]
	s_add_u32 s10, s10, 8
	s_addc_u32 s11, s11, 0
	v_or_b32_e32 v18, v6, v18
	s_cmp_lg_u32 s14, s12
	v_or_b32_e32 v19, v7, v19
	s_cbranch_scc1 .LBB4_205
	s_branch .LBB4_208
.LBB4_206:                              ;   in Loop: Header=BB4_162 Depth=1
                                        ; implicit-def: $vgpr18_vgpr19
	s_mov_b32 s15, 0
	s_branch .LBB4_209
.LBB4_207:                              ;   in Loop: Header=BB4_162 Depth=1
	v_mov_b32_e32 v18, 0
	v_mov_b32_e32 v19, 0
.LBB4_208:                              ;   in Loop: Header=BB4_162 Depth=1
	s_mov_b64 s[10:11], s[0:1]
	s_mov_b32 s15, 0
	s_cbranch_execnz .LBB4_210
.LBB4_209:                              ;   in Loop: Header=BB4_162 Depth=1
	global_load_dwordx2 v[18:19], v26, s[0:1]
	s_add_i32 s15, s14, -8
.LBB4_210:                              ;   in Loop: Header=BB4_162 Depth=1
	s_cmp_gt_u32 s15, 7
	s_cbranch_scc1 .LBB4_214
; %bb.211:                              ;   in Loop: Header=BB4_162 Depth=1
	s_cmp_eq_u32 s15, 0
	s_cbranch_scc1 .LBB4_215
; %bb.212:                              ;   in Loop: Header=BB4_162 Depth=1
	v_mov_b32_e32 v20, 0
	s_mov_b64 s[0:1], 0
	v_mov_b32_e32 v21, 0
	s_mov_b64 s[12:13], s[10:11]
.LBB4_213:                              ;   Parent Loop BB4_162 Depth=1
                                        ; =>  This Inner Loop Header: Depth=2
	global_load_ubyte v6, v26, s[12:13]
	s_add_i32 s15, s15, -1
	s_waitcnt vmcnt(0)
	v_and_b32_e32 v25, 0xffff, v6
	v_lshlrev_b64 v[6:7], s0, v[25:26]
	s_add_u32 s0, s0, 8
	s_addc_u32 s1, s1, 0
	s_add_u32 s12, s12, 1
	s_addc_u32 s13, s13, 0
	v_or_b32_e32 v20, v6, v20
	s_cmp_lg_u32 s15, 0
	v_or_b32_e32 v21, v7, v21
	s_cbranch_scc1 .LBB4_213
	s_branch .LBB4_216
.LBB4_214:                              ;   in Loop: Header=BB4_162 Depth=1
	s_branch .LBB4_217
.LBB4_215:                              ;   in Loop: Header=BB4_162 Depth=1
	v_mov_b32_e32 v20, 0
	v_mov_b32_e32 v21, 0
.LBB4_216:                              ;   in Loop: Header=BB4_162 Depth=1
	s_cbranch_execnz .LBB4_218
.LBB4_217:                              ;   in Loop: Header=BB4_162 Depth=1
	global_load_dwordx2 v[20:21], v26, s[10:11]
.LBB4_218:                              ;   in Loop: Header=BB4_162 Depth=1
	v_readfirstlane_b32 s0, v32
	v_mov_b32_e32 v6, 0
	v_mov_b32_e32 v7, 0
	v_cmp_eq_u32_e64 s[0:1], s0, v32
	s_and_saveexec_b64 s[10:11], s[0:1]
	s_cbranch_execz .LBB4_224
; %bb.219:                              ;   in Loop: Header=BB4_162 Depth=1
	global_load_dwordx2 v[24:25], v26, s[2:3] offset:24 glc
	s_waitcnt vmcnt(0)
	buffer_wbinvl1_vol
	global_load_dwordx2 v[6:7], v26, s[2:3] offset:40
	global_load_dwordx2 v[22:23], v26, s[2:3]
	s_waitcnt vmcnt(1)
	v_and_b32_e32 v6, v6, v24
	v_and_b32_e32 v7, v7, v25
	v_mul_lo_u32 v7, v7, 24
	v_mul_hi_u32 v27, v6, 24
	v_mul_lo_u32 v6, v6, 24
	v_add_u32_e32 v7, v27, v7
	s_waitcnt vmcnt(0)
	v_add_co_u32_e32 v6, vcc, v22, v6
	v_addc_co_u32_e32 v7, vcc, v23, v7, vcc
	global_load_dwordx2 v[22:23], v[6:7], off glc
	s_waitcnt vmcnt(0)
	global_atomic_cmpswap_x2 v[6:7], v26, v[22:25], s[2:3] offset:24 glc
	s_waitcnt vmcnt(0)
	buffer_wbinvl1_vol
	v_cmp_ne_u64_e32 vcc, v[6:7], v[24:25]
	s_and_saveexec_b64 s[12:13], vcc
	s_cbranch_execz .LBB4_223
; %bb.220:                              ;   in Loop: Header=BB4_162 Depth=1
	s_mov_b64 s[14:15], 0
.LBB4_221:                              ;   Parent Loop BB4_162 Depth=1
                                        ; =>  This Inner Loop Header: Depth=2
	s_sleep 1
	global_load_dwordx2 v[22:23], v26, s[2:3] offset:40
	global_load_dwordx2 v[27:28], v26, s[2:3]
	v_mov_b32_e32 v25, v7
	v_mov_b32_e32 v24, v6
	s_waitcnt vmcnt(1)
	v_and_b32_e32 v6, v22, v24
	s_waitcnt vmcnt(0)
	v_mad_u64_u32 v[6:7], s[16:17], v6, 24, v[27:28]
	v_and_b32_e32 v22, v23, v25
	v_mad_u64_u32 v[22:23], s[16:17], v22, 24, v[7:8]
	v_mov_b32_e32 v7, v22
	global_load_dwordx2 v[22:23], v[6:7], off glc
	s_waitcnt vmcnt(0)
	global_atomic_cmpswap_x2 v[6:7], v26, v[22:25], s[2:3] offset:24 glc
	s_waitcnt vmcnt(0)
	buffer_wbinvl1_vol
	v_cmp_eq_u64_e32 vcc, v[6:7], v[24:25]
	s_or_b64 s[14:15], vcc, s[14:15]
	s_andn2_b64 exec, exec, s[14:15]
	s_cbranch_execnz .LBB4_221
; %bb.222:                              ;   in Loop: Header=BB4_162 Depth=1
	s_or_b64 exec, exec, s[14:15]
.LBB4_223:                              ;   in Loop: Header=BB4_162 Depth=1
	s_or_b64 exec, exec, s[12:13]
.LBB4_224:                              ;   in Loop: Header=BB4_162 Depth=1
	s_or_b64 exec, exec, s[10:11]
	global_load_dwordx2 v[27:28], v26, s[2:3] offset:40
	global_load_dwordx4 v[22:25], v26, s[2:3]
	v_readfirstlane_b32 s11, v7
	v_readfirstlane_b32 s10, v6
	s_mov_b64 s[12:13], exec
	s_waitcnt vmcnt(1)
	v_readfirstlane_b32 s14, v27
	v_readfirstlane_b32 s15, v28
	s_and_b64 s[14:15], s[14:15], s[10:11]
	s_mul_i32 s16, s15, 24
	s_mul_hi_u32 s17, s14, 24
	s_mul_i32 s18, s14, 24
	s_add_i32 s16, s17, s16
	v_mov_b32_e32 v6, s16
	s_waitcnt vmcnt(0)
	v_add_co_u32_e32 v27, vcc, s18, v22
	v_addc_co_u32_e32 v28, vcc, v23, v6, vcc
	s_and_saveexec_b64 s[16:17], s[0:1]
	s_cbranch_execz .LBB4_226
; %bb.225:                              ;   in Loop: Header=BB4_162 Depth=1
	v_mov_b32_e32 v6, s12
	v_mov_b32_e32 v7, s13
	global_store_dwordx4 v[27:28], v[6:9], off offset:8
.LBB4_226:                              ;   in Loop: Header=BB4_162 Depth=1
	s_or_b64 exec, exec, s[16:17]
	s_lshl_b64 s[12:13], s[14:15], 12
	v_mov_b32_e32 v6, s13
	v_add_co_u32_e32 v24, vcc, s12, v24
	v_addc_co_u32_e32 v30, vcc, v25, v6, vcc
	v_cmp_lt_u64_e64 vcc, s[6:7], 57
	s_lshl_b32 s12, s8, 2
	v_cndmask_b32_e32 v6, 0, v29, vcc
	s_add_i32 s12, s12, 28
	v_and_b32_e32 v0, 0xffffff1f, v0
	s_and_b32 s12, s12, 0x1e0
	v_or_b32_e32 v0, v0, v6
	v_or_b32_e32 v0, s12, v0
	v_readfirstlane_b32 s12, v24
	v_readfirstlane_b32 s13, v30
	s_nop 4
	global_store_dwordx4 v31, v[0:3], s[12:13]
	global_store_dwordx4 v31, v[10:13], s[12:13] offset:16
	global_store_dwordx4 v31, v[14:17], s[12:13] offset:32
	;; [unrolled: 1-line block ×3, first 2 shown]
	s_and_saveexec_b64 s[12:13], s[0:1]
	s_cbranch_execz .LBB4_234
; %bb.227:                              ;   in Loop: Header=BB4_162 Depth=1
	global_load_dwordx2 v[12:13], v26, s[2:3] offset:32 glc
	global_load_dwordx2 v[0:1], v26, s[2:3] offset:40
	v_mov_b32_e32 v10, s10
	v_mov_b32_e32 v11, s11
	s_waitcnt vmcnt(0)
	v_readfirstlane_b32 s14, v0
	v_readfirstlane_b32 s15, v1
	s_and_b64 s[14:15], s[14:15], s[10:11]
	s_mul_i32 s15, s15, 24
	s_mul_hi_u32 s16, s14, 24
	s_mul_i32 s14, s14, 24
	s_add_i32 s15, s16, s15
	v_mov_b32_e32 v0, s15
	v_add_co_u32_e32 v6, vcc, s14, v22
	v_addc_co_u32_e32 v7, vcc, v23, v0, vcc
	global_store_dwordx2 v[6:7], v[12:13], off
	s_waitcnt vmcnt(0)
	global_atomic_cmpswap_x2 v[2:3], v26, v[10:13], s[2:3] offset:32 glc
	s_waitcnt vmcnt(0)
	v_cmp_ne_u64_e32 vcc, v[2:3], v[12:13]
	s_and_saveexec_b64 s[14:15], vcc
	s_cbranch_execz .LBB4_230
; %bb.228:                              ;   in Loop: Header=BB4_162 Depth=1
	s_mov_b64 s[16:17], 0
.LBB4_229:                              ;   Parent Loop BB4_162 Depth=1
                                        ; =>  This Inner Loop Header: Depth=2
	s_sleep 1
	global_store_dwordx2 v[6:7], v[2:3], off
	v_mov_b32_e32 v0, s10
	v_mov_b32_e32 v1, s11
	s_waitcnt vmcnt(0)
	global_atomic_cmpswap_x2 v[0:1], v26, v[0:3], s[2:3] offset:32 glc
	s_waitcnt vmcnt(0)
	v_cmp_eq_u64_e32 vcc, v[0:1], v[2:3]
	v_mov_b32_e32 v3, v1
	s_or_b64 s[16:17], vcc, s[16:17]
	v_mov_b32_e32 v2, v0
	s_andn2_b64 exec, exec, s[16:17]
	s_cbranch_execnz .LBB4_229
.LBB4_230:                              ;   in Loop: Header=BB4_162 Depth=1
	s_or_b64 exec, exec, s[14:15]
	global_load_dwordx2 v[0:1], v26, s[2:3] offset:16
	s_mov_b64 s[16:17], exec
	v_mbcnt_lo_u32_b32 v2, s16, 0
	v_mbcnt_hi_u32_b32 v2, s17, v2
	v_cmp_eq_u32_e32 vcc, 0, v2
	s_and_saveexec_b64 s[14:15], vcc
	s_cbranch_execz .LBB4_232
; %bb.231:                              ;   in Loop: Header=BB4_162 Depth=1
	s_bcnt1_i32_b64 s16, s[16:17]
	v_mov_b32_e32 v25, s16
	s_waitcnt vmcnt(0)
	global_atomic_add_x2 v[0:1], v[25:26], off offset:8
.LBB4_232:                              ;   in Loop: Header=BB4_162 Depth=1
	s_or_b64 exec, exec, s[14:15]
	s_waitcnt vmcnt(0)
	global_load_dwordx2 v[2:3], v[0:1], off offset:16
	s_waitcnt vmcnt(0)
	v_cmp_eq_u64_e32 vcc, 0, v[2:3]
	s_cbranch_vccnz .LBB4_234
; %bb.233:                              ;   in Loop: Header=BB4_162 Depth=1
	global_load_dword v25, v[0:1], off offset:24
	s_waitcnt vmcnt(0)
	v_readfirstlane_b32 s14, v25
	s_and_b32 m0, s14, 0xffffff
	global_store_dwordx2 v[2:3], v[25:26], off
	s_sendmsg sendmsg(MSG_INTERRUPT)
.LBB4_234:                              ;   in Loop: Header=BB4_162 Depth=1
	s_or_b64 exec, exec, s[12:13]
	v_add_co_u32_e32 v0, vcc, v24, v31
	v_addc_co_u32_e32 v1, vcc, 0, v30, vcc
	s_branch .LBB4_238
.LBB4_235:                              ;   in Loop: Header=BB4_238 Depth=2
	s_or_b64 exec, exec, s[12:13]
	v_readfirstlane_b32 s12, v2
	s_cmp_eq_u32 s12, 0
	s_cbranch_scc1 .LBB4_237
; %bb.236:                              ;   in Loop: Header=BB4_238 Depth=2
	s_sleep 1
	s_cbranch_execnz .LBB4_238
	s_branch .LBB4_240
.LBB4_237:                              ;   in Loop: Header=BB4_162 Depth=1
	s_branch .LBB4_240
.LBB4_238:                              ;   Parent Loop BB4_162 Depth=1
                                        ; =>  This Inner Loop Header: Depth=2
	v_mov_b32_e32 v2, 1
	s_and_saveexec_b64 s[12:13], s[0:1]
	s_cbranch_execz .LBB4_235
; %bb.239:                              ;   in Loop: Header=BB4_238 Depth=2
	global_load_dword v2, v[27:28], off offset:20 glc
	s_waitcnt vmcnt(0)
	buffer_wbinvl1_vol
	v_and_b32_e32 v2, 1, v2
	s_branch .LBB4_235
.LBB4_240:                              ;   in Loop: Header=BB4_162 Depth=1
	global_load_dwordx2 v[0:1], v[0:1], off
	s_and_saveexec_b64 s[12:13], s[0:1]
	s_cbranch_execz .LBB4_161
; %bb.241:                              ;   in Loop: Header=BB4_162 Depth=1
	global_load_dwordx2 v[2:3], v26, s[2:3] offset:40
	global_load_dwordx2 v[14:15], v26, s[2:3] offset:24 glc
	global_load_dwordx2 v[6:7], v26, s[2:3]
	s_waitcnt vmcnt(2)
	v_readfirstlane_b32 s14, v2
	v_readfirstlane_b32 s15, v3
	s_add_u32 s16, s14, 1
	s_addc_u32 s17, s15, 0
	s_add_u32 s0, s16, s10
	s_addc_u32 s1, s17, s11
	s_cmp_eq_u64 s[0:1], 0
	s_cselect_b32 s1, s17, s1
	s_cselect_b32 s0, s16, s0
	s_and_b64 s[10:11], s[0:1], s[14:15]
	s_mul_i32 s11, s11, 24
	s_mul_hi_u32 s14, s10, 24
	s_mul_i32 s10, s10, 24
	s_add_i32 s11, s14, s11
	v_mov_b32_e32 v3, s11
	s_waitcnt vmcnt(0)
	v_add_co_u32_e32 v2, vcc, s10, v6
	v_addc_co_u32_e32 v3, vcc, v7, v3, vcc
	v_mov_b32_e32 v12, s0
	global_store_dwordx2 v[2:3], v[14:15], off
	v_mov_b32_e32 v13, s1
	s_waitcnt vmcnt(0)
	global_atomic_cmpswap_x2 v[12:13], v26, v[12:15], s[2:3] offset:24 glc
	s_waitcnt vmcnt(0)
	v_cmp_ne_u64_e32 vcc, v[12:13], v[14:15]
	s_and_b64 exec, exec, vcc
	s_cbranch_execz .LBB4_161
; %bb.242:                              ;   in Loop: Header=BB4_162 Depth=1
	s_mov_b64 s[10:11], 0
.LBB4_243:                              ;   Parent Loop BB4_162 Depth=1
                                        ; =>  This Inner Loop Header: Depth=2
	s_sleep 1
	global_store_dwordx2 v[2:3], v[12:13], off
	v_mov_b32_e32 v10, s0
	v_mov_b32_e32 v11, s1
	s_waitcnt vmcnt(0)
	global_atomic_cmpswap_x2 v[6:7], v26, v[10:13], s[2:3] offset:24 glc
	s_waitcnt vmcnt(0)
	v_cmp_eq_u64_e32 vcc, v[6:7], v[12:13]
	v_mov_b32_e32 v13, v7
	s_or_b64 s[10:11], vcc, s[10:11]
	v_mov_b32_e32 v12, v6
	s_andn2_b64 exec, exec, s[10:11]
	s_cbranch_execnz .LBB4_243
	s_branch .LBB4_161
.LBB4_244:
	s_mov_b64 s[0:1], -1
                                        ; implicit-def: $vgpr0_vgpr1
	s_branch .LBB4_246
.LBB4_245:
	s_mov_b64 s[0:1], 0
.LBB4_246:
	s_and_b64 vcc, exec, s[0:1]
	s_cbranch_vccz .LBB4_273
; %bb.247:
	v_readfirstlane_b32 s0, v32
	v_mov_b32_e32 v7, 0
	v_mov_b32_e32 v8, 0
	v_cmp_eq_u32_e64 s[0:1], s0, v32
	s_and_saveexec_b64 s[4:5], s[0:1]
	s_cbranch_execz .LBB4_253
; %bb.248:
	s_waitcnt vmcnt(0)
	v_mov_b32_e32 v0, 0
	global_load_dwordx2 v[9:10], v0, s[2:3] offset:24 glc
	s_waitcnt vmcnt(0)
	buffer_wbinvl1_vol
	global_load_dwordx2 v[1:2], v0, s[2:3] offset:40
	global_load_dwordx2 v[6:7], v0, s[2:3]
	s_waitcnt vmcnt(1)
	v_and_b32_e32 v1, v1, v9
	v_and_b32_e32 v2, v2, v10
	v_mul_lo_u32 v2, v2, 24
	v_mul_hi_u32 v3, v1, 24
	v_mul_lo_u32 v1, v1, 24
	v_add_u32_e32 v2, v3, v2
	s_waitcnt vmcnt(0)
	v_add_co_u32_e32 v1, vcc, v6, v1
	v_addc_co_u32_e32 v2, vcc, v7, v2, vcc
	global_load_dwordx2 v[7:8], v[1:2], off glc
	s_waitcnt vmcnt(0)
	global_atomic_cmpswap_x2 v[7:8], v0, v[7:10], s[2:3] offset:24 glc
	s_waitcnt vmcnt(0)
	buffer_wbinvl1_vol
	v_cmp_ne_u64_e32 vcc, v[7:8], v[9:10]
	s_and_saveexec_b64 s[6:7], vcc
	s_cbranch_execz .LBB4_252
; %bb.249:
	s_mov_b64 s[8:9], 0
.LBB4_250:                              ; =>This Inner Loop Header: Depth=1
	s_sleep 1
	global_load_dwordx2 v[1:2], v0, s[2:3] offset:40
	global_load_dwordx2 v[11:12], v0, s[2:3]
	v_mov_b32_e32 v10, v8
	v_mov_b32_e32 v9, v7
	s_waitcnt vmcnt(1)
	v_and_b32_e32 v1, v1, v9
	s_waitcnt vmcnt(0)
	v_mad_u64_u32 v[6:7], s[10:11], v1, 24, v[11:12]
	v_and_b32_e32 v2, v2, v10
	v_mov_b32_e32 v1, v7
	v_mad_u64_u32 v[1:2], s[10:11], v2, 24, v[1:2]
	v_mov_b32_e32 v7, v1
	global_load_dwordx2 v[7:8], v[6:7], off glc
	s_waitcnt vmcnt(0)
	global_atomic_cmpswap_x2 v[7:8], v0, v[7:10], s[2:3] offset:24 glc
	s_waitcnt vmcnt(0)
	buffer_wbinvl1_vol
	v_cmp_eq_u64_e32 vcc, v[7:8], v[9:10]
	s_or_b64 s[8:9], vcc, s[8:9]
	s_andn2_b64 exec, exec, s[8:9]
	s_cbranch_execnz .LBB4_250
; %bb.251:
	s_or_b64 exec, exec, s[8:9]
.LBB4_252:
	s_or_b64 exec, exec, s[6:7]
.LBB4_253:
	s_or_b64 exec, exec, s[4:5]
	v_mov_b32_e32 v6, 0
	global_load_dwordx2 v[9:10], v6, s[2:3] offset:40
	global_load_dwordx4 v[0:3], v6, s[2:3]
	v_readfirstlane_b32 s5, v8
	v_readfirstlane_b32 s4, v7
	s_mov_b64 s[6:7], exec
	s_waitcnt vmcnt(1)
	v_readfirstlane_b32 s8, v9
	v_readfirstlane_b32 s9, v10
	s_and_b64 s[8:9], s[8:9], s[4:5]
	s_mul_i32 s10, s9, 24
	s_mul_hi_u32 s11, s8, 24
	s_mul_i32 s12, s8, 24
	s_add_i32 s10, s11, s10
	v_mov_b32_e32 v7, s10
	s_waitcnt vmcnt(0)
	v_add_co_u32_e32 v8, vcc, s12, v0
	v_addc_co_u32_e32 v9, vcc, v1, v7, vcc
	s_and_saveexec_b64 s[10:11], s[0:1]
	s_cbranch_execz .LBB4_255
; %bb.254:
	v_mov_b32_e32 v11, s7
	v_mov_b32_e32 v10, s6
	;; [unrolled: 1-line block ×4, first 2 shown]
	global_store_dwordx4 v[8:9], v[10:13], off offset:8
.LBB4_255:
	s_or_b64 exec, exec, s[10:11]
	s_lshl_b64 s[6:7], s[8:9], 12
	v_mov_b32_e32 v7, s7
	v_add_co_u32_e32 v2, vcc, s6, v2
	v_addc_co_u32_e32 v3, vcc, v3, v7, vcc
	s_movk_i32 s6, 0xff1f
	v_and_or_b32 v4, v4, s6, 32
	v_add_co_u32_e32 v10, vcc, v2, v31
	s_mov_b32 s8, 0
	v_mov_b32_e32 v7, v6
	v_readfirstlane_b32 s6, v2
	v_readfirstlane_b32 s7, v3
	v_addc_co_u32_e32 v11, vcc, 0, v3, vcc
	s_mov_b32 s9, s8
	s_mov_b32 s10, s8
	;; [unrolled: 1-line block ×3, first 2 shown]
	s_nop 0
	global_store_dwordx4 v31, v[4:7], s[6:7]
	v_mov_b32_e32 v2, s8
	v_mov_b32_e32 v3, s9
	;; [unrolled: 1-line block ×4, first 2 shown]
	global_store_dwordx4 v31, v[2:5], s[6:7] offset:16
	global_store_dwordx4 v31, v[2:5], s[6:7] offset:32
	;; [unrolled: 1-line block ×3, first 2 shown]
	s_and_saveexec_b64 s[6:7], s[0:1]
	s_cbranch_execz .LBB4_263
; %bb.256:
	v_mov_b32_e32 v6, 0
	global_load_dwordx2 v[14:15], v6, s[2:3] offset:32 glc
	global_load_dwordx2 v[2:3], v6, s[2:3] offset:40
	v_mov_b32_e32 v12, s4
	v_mov_b32_e32 v13, s5
	s_waitcnt vmcnt(0)
	v_readfirstlane_b32 s8, v2
	v_readfirstlane_b32 s9, v3
	s_and_b64 s[8:9], s[8:9], s[4:5]
	s_mul_i32 s9, s9, 24
	s_mul_hi_u32 s10, s8, 24
	s_mul_i32 s8, s8, 24
	s_add_i32 s9, s10, s9
	v_mov_b32_e32 v2, s9
	v_add_co_u32_e32 v4, vcc, s8, v0
	v_addc_co_u32_e32 v5, vcc, v1, v2, vcc
	global_store_dwordx2 v[4:5], v[14:15], off
	s_waitcnt vmcnt(0)
	global_atomic_cmpswap_x2 v[2:3], v6, v[12:15], s[2:3] offset:32 glc
	s_waitcnt vmcnt(0)
	v_cmp_ne_u64_e32 vcc, v[2:3], v[14:15]
	s_and_saveexec_b64 s[8:9], vcc
	s_cbranch_execz .LBB4_259
; %bb.257:
	s_mov_b64 s[10:11], 0
.LBB4_258:                              ; =>This Inner Loop Header: Depth=1
	s_sleep 1
	global_store_dwordx2 v[4:5], v[2:3], off
	v_mov_b32_e32 v0, s4
	v_mov_b32_e32 v1, s5
	s_waitcnt vmcnt(0)
	global_atomic_cmpswap_x2 v[0:1], v6, v[0:3], s[2:3] offset:32 glc
	s_waitcnt vmcnt(0)
	v_cmp_eq_u64_e32 vcc, v[0:1], v[2:3]
	v_mov_b32_e32 v3, v1
	s_or_b64 s[10:11], vcc, s[10:11]
	v_mov_b32_e32 v2, v0
	s_andn2_b64 exec, exec, s[10:11]
	s_cbranch_execnz .LBB4_258
.LBB4_259:
	s_or_b64 exec, exec, s[8:9]
	v_mov_b32_e32 v3, 0
	global_load_dwordx2 v[0:1], v3, s[2:3] offset:16
	s_mov_b64 s[8:9], exec
	v_mbcnt_lo_u32_b32 v2, s8, 0
	v_mbcnt_hi_u32_b32 v2, s9, v2
	v_cmp_eq_u32_e32 vcc, 0, v2
	s_and_saveexec_b64 s[10:11], vcc
	s_cbranch_execz .LBB4_261
; %bb.260:
	s_bcnt1_i32_b64 s8, s[8:9]
	v_mov_b32_e32 v2, s8
	s_waitcnt vmcnt(0)
	global_atomic_add_x2 v[0:1], v[2:3], off offset:8
.LBB4_261:
	s_or_b64 exec, exec, s[10:11]
	s_waitcnt vmcnt(0)
	global_load_dwordx2 v[2:3], v[0:1], off offset:16
	s_waitcnt vmcnt(0)
	v_cmp_eq_u64_e32 vcc, 0, v[2:3]
	s_cbranch_vccnz .LBB4_263
; %bb.262:
	global_load_dword v0, v[0:1], off offset:24
	v_mov_b32_e32 v1, 0
	s_waitcnt vmcnt(0)
	v_readfirstlane_b32 s8, v0
	s_and_b32 m0, s8, 0xffffff
	global_store_dwordx2 v[2:3], v[0:1], off
	s_sendmsg sendmsg(MSG_INTERRUPT)
.LBB4_263:
	s_or_b64 exec, exec, s[6:7]
	s_branch .LBB4_267
.LBB4_264:                              ;   in Loop: Header=BB4_267 Depth=1
	s_or_b64 exec, exec, s[6:7]
	v_readfirstlane_b32 s6, v0
	s_cmp_eq_u32 s6, 0
	s_cbranch_scc1 .LBB4_266
; %bb.265:                              ;   in Loop: Header=BB4_267 Depth=1
	s_sleep 1
	s_cbranch_execnz .LBB4_267
	s_branch .LBB4_269
.LBB4_266:
	s_branch .LBB4_269
.LBB4_267:                              ; =>This Inner Loop Header: Depth=1
	v_mov_b32_e32 v0, 1
	s_and_saveexec_b64 s[6:7], s[0:1]
	s_cbranch_execz .LBB4_264
; %bb.268:                              ;   in Loop: Header=BB4_267 Depth=1
	global_load_dword v0, v[8:9], off offset:20 glc
	s_waitcnt vmcnt(0)
	buffer_wbinvl1_vol
	v_and_b32_e32 v0, 1, v0
	s_branch .LBB4_264
.LBB4_269:
	global_load_dwordx2 v[0:1], v[10:11], off
	s_and_saveexec_b64 s[6:7], s[0:1]
	s_cbranch_execz .LBB4_272
; %bb.270:
	v_mov_b32_e32 v8, 0
	global_load_dwordx2 v[2:3], v8, s[2:3] offset:40
	global_load_dwordx2 v[11:12], v8, s[2:3] offset:24 glc
	global_load_dwordx2 v[4:5], v8, s[2:3]
	s_waitcnt vmcnt(2)
	v_readfirstlane_b32 s8, v2
	v_readfirstlane_b32 s9, v3
	s_add_u32 s10, s8, 1
	s_addc_u32 s11, s9, 0
	s_add_u32 s0, s10, s4
	s_addc_u32 s1, s11, s5
	s_cmp_eq_u64 s[0:1], 0
	s_cselect_b32 s1, s11, s1
	s_cselect_b32 s0, s10, s0
	s_and_b64 s[4:5], s[0:1], s[8:9]
	s_mul_i32 s5, s5, 24
	s_mul_hi_u32 s8, s4, 24
	s_mul_i32 s4, s4, 24
	s_add_i32 s5, s8, s5
	v_mov_b32_e32 v2, s5
	s_waitcnt vmcnt(0)
	v_add_co_u32_e32 v6, vcc, s4, v4
	v_addc_co_u32_e32 v7, vcc, v5, v2, vcc
	v_mov_b32_e32 v9, s0
	global_store_dwordx2 v[6:7], v[11:12], off
	v_mov_b32_e32 v10, s1
	s_waitcnt vmcnt(0)
	global_atomic_cmpswap_x2 v[4:5], v8, v[9:12], s[2:3] offset:24 glc
	s_mov_b64 s[4:5], 0
	s_waitcnt vmcnt(0)
	v_cmp_ne_u64_e32 vcc, v[4:5], v[11:12]
	s_and_b64 exec, exec, vcc
	s_cbranch_execz .LBB4_272
.LBB4_271:                              ; =>This Inner Loop Header: Depth=1
	s_sleep 1
	global_store_dwordx2 v[6:7], v[4:5], off
	v_mov_b32_e32 v2, s0
	v_mov_b32_e32 v3, s1
	s_waitcnt vmcnt(0)
	global_atomic_cmpswap_x2 v[2:3], v8, v[2:5], s[2:3] offset:24 glc
	s_waitcnt vmcnt(0)
	v_cmp_eq_u64_e32 vcc, v[2:3], v[4:5]
	v_mov_b32_e32 v5, v3
	s_or_b64 s[4:5], vcc, s[4:5]
	v_mov_b32_e32 v4, v2
	s_andn2_b64 exec, exec, s[4:5]
	s_cbranch_execnz .LBB4_271
.LBB4_272:
	s_or_b64 exec, exec, s[6:7]
.LBB4_273:
	s_getpc_b64 s[4:5]
	s_add_u32 s4, s4, __FUNCTION__._ZN9rocsparseL38csr2csr_compress_use_warp_start_deviceILj256ELj32ELj2EfEEvi21rocsparse_index_base_PKT2_PKiS1_PS2_PiPKjS2_@rel32@lo+4
	s_addc_u32 s5, s5, __FUNCTION__._ZN9rocsparseL38csr2csr_compress_use_warp_start_deviceILj256ELj32ELj2EfEEvi21rocsparse_index_base_PKT2_PKiS1_PS2_PiPKjS2_@rel32@hi+12
	s_cmp_lg_u64 s[4:5], 0
	s_cbranch_scc0 .LBB4_358
; %bb.274:
	s_waitcnt vmcnt(0)
	v_and_b32_e32 v29, 2, v0
	v_mov_b32_e32 v26, 0
	v_and_b32_e32 v2, -3, v0
	v_mov_b32_e32 v3, v1
	s_mov_b64 s[6:7], 39
	v_mov_b32_e32 v8, 2
	v_mov_b32_e32 v9, 1
	s_branch .LBB4_276
.LBB4_275:                              ;   in Loop: Header=BB4_276 Depth=1
	s_or_b64 exec, exec, s[12:13]
	s_sub_u32 s6, s6, s8
	s_subb_u32 s7, s7, s9
	s_add_u32 s4, s4, s8
	s_addc_u32 s5, s5, s9
	s_cmp_lg_u64 s[6:7], 0
	s_cbranch_scc0 .LBB4_359
.LBB4_276:                              ; =>This Loop Header: Depth=1
                                        ;     Child Loop BB4_279 Depth 2
                                        ;     Child Loop BB4_287 Depth 2
	;; [unrolled: 1-line block ×11, first 2 shown]
	v_cmp_lt_u64_e64 s[0:1], s[6:7], 56
	v_cmp_gt_u64_e64 s[10:11], s[6:7], 7
	s_and_b64 s[0:1], s[0:1], exec
	s_cselect_b32 s9, s7, 0
	s_cselect_b32 s8, s6, 56
	s_add_u32 s0, s4, 8
	s_addc_u32 s1, s5, 0
	s_and_b64 vcc, exec, s[10:11]
	s_cbranch_vccnz .LBB4_280
; %bb.277:                              ;   in Loop: Header=BB4_276 Depth=1
	s_cmp_eq_u64 s[6:7], 0
	s_cbranch_scc1 .LBB4_281
; %bb.278:                              ;   in Loop: Header=BB4_276 Depth=1
	v_mov_b32_e32 v4, 0
	s_lshl_b64 s[0:1], s[8:9], 3
	s_mov_b64 s[10:11], 0
	v_mov_b32_e32 v5, 0
	s_mov_b64 s[12:13], s[4:5]
.LBB4_279:                              ;   Parent Loop BB4_276 Depth=1
                                        ; =>  This Inner Loop Header: Depth=2
	global_load_ubyte v6, v26, s[12:13]
	s_waitcnt vmcnt(0)
	v_and_b32_e32 v25, 0xffff, v6
	v_lshlrev_b64 v[6:7], s10, v[25:26]
	s_add_u32 s10, s10, 8
	s_addc_u32 s11, s11, 0
	s_add_u32 s12, s12, 1
	s_addc_u32 s13, s13, 0
	v_or_b32_e32 v4, v6, v4
	s_cmp_lg_u32 s0, s10
	v_or_b32_e32 v5, v7, v5
	s_cbranch_scc1 .LBB4_279
	s_branch .LBB4_282
.LBB4_280:                              ;   in Loop: Header=BB4_276 Depth=1
	s_mov_b32 s14, 0
	s_branch .LBB4_283
.LBB4_281:                              ;   in Loop: Header=BB4_276 Depth=1
	v_mov_b32_e32 v4, 0
	v_mov_b32_e32 v5, 0
.LBB4_282:                              ;   in Loop: Header=BB4_276 Depth=1
	s_mov_b64 s[0:1], s[4:5]
	s_mov_b32 s14, 0
	s_cbranch_execnz .LBB4_284
.LBB4_283:                              ;   in Loop: Header=BB4_276 Depth=1
	global_load_dwordx2 v[4:5], v26, s[4:5]
	s_add_i32 s14, s8, -8
.LBB4_284:                              ;   in Loop: Header=BB4_276 Depth=1
	s_add_u32 s10, s0, 8
	s_addc_u32 s11, s1, 0
	s_cmp_gt_u32 s14, 7
	s_cbranch_scc1 .LBB4_288
; %bb.285:                              ;   in Loop: Header=BB4_276 Depth=1
	s_cmp_eq_u32 s14, 0
	s_cbranch_scc1 .LBB4_289
; %bb.286:                              ;   in Loop: Header=BB4_276 Depth=1
	v_mov_b32_e32 v10, 0
	s_mov_b64 s[10:11], 0
	v_mov_b32_e32 v11, 0
	s_mov_b64 s[12:13], 0
.LBB4_287:                              ;   Parent Loop BB4_276 Depth=1
                                        ; =>  This Inner Loop Header: Depth=2
	s_add_u32 s16, s0, s12
	s_addc_u32 s17, s1, s13
	global_load_ubyte v6, v26, s[16:17]
	s_add_u32 s12, s12, 1
	s_addc_u32 s13, s13, 0
	s_waitcnt vmcnt(0)
	v_and_b32_e32 v25, 0xffff, v6
	v_lshlrev_b64 v[6:7], s10, v[25:26]
	s_add_u32 s10, s10, 8
	s_addc_u32 s11, s11, 0
	v_or_b32_e32 v10, v6, v10
	s_cmp_lg_u32 s14, s12
	v_or_b32_e32 v11, v7, v11
	s_cbranch_scc1 .LBB4_287
	s_branch .LBB4_290
.LBB4_288:                              ;   in Loop: Header=BB4_276 Depth=1
                                        ; implicit-def: $vgpr10_vgpr11
	s_mov_b32 s15, 0
	s_branch .LBB4_291
.LBB4_289:                              ;   in Loop: Header=BB4_276 Depth=1
	v_mov_b32_e32 v10, 0
	v_mov_b32_e32 v11, 0
.LBB4_290:                              ;   in Loop: Header=BB4_276 Depth=1
	s_mov_b64 s[10:11], s[0:1]
	s_mov_b32 s15, 0
	s_cbranch_execnz .LBB4_292
.LBB4_291:                              ;   in Loop: Header=BB4_276 Depth=1
	global_load_dwordx2 v[10:11], v26, s[0:1]
	s_add_i32 s15, s14, -8
.LBB4_292:                              ;   in Loop: Header=BB4_276 Depth=1
	s_add_u32 s0, s10, 8
	s_addc_u32 s1, s11, 0
	s_cmp_gt_u32 s15, 7
	s_cbranch_scc1 .LBB4_296
; %bb.293:                              ;   in Loop: Header=BB4_276 Depth=1
	s_cmp_eq_u32 s15, 0
	s_cbranch_scc1 .LBB4_297
; %bb.294:                              ;   in Loop: Header=BB4_276 Depth=1
	v_mov_b32_e32 v12, 0
	s_mov_b64 s[0:1], 0
	v_mov_b32_e32 v13, 0
	s_mov_b64 s[12:13], 0
.LBB4_295:                              ;   Parent Loop BB4_276 Depth=1
                                        ; =>  This Inner Loop Header: Depth=2
	s_add_u32 s16, s10, s12
	s_addc_u32 s17, s11, s13
	global_load_ubyte v6, v26, s[16:17]
	s_add_u32 s12, s12, 1
	s_addc_u32 s13, s13, 0
	s_waitcnt vmcnt(0)
	v_and_b32_e32 v25, 0xffff, v6
	v_lshlrev_b64 v[6:7], s0, v[25:26]
	s_add_u32 s0, s0, 8
	s_addc_u32 s1, s1, 0
	v_or_b32_e32 v12, v6, v12
	s_cmp_lg_u32 s15, s12
	v_or_b32_e32 v13, v7, v13
	s_cbranch_scc1 .LBB4_295
	s_branch .LBB4_298
.LBB4_296:                              ;   in Loop: Header=BB4_276 Depth=1
	s_mov_b32 s14, 0
	s_branch .LBB4_299
.LBB4_297:                              ;   in Loop: Header=BB4_276 Depth=1
	v_mov_b32_e32 v12, 0
	v_mov_b32_e32 v13, 0
.LBB4_298:                              ;   in Loop: Header=BB4_276 Depth=1
	s_mov_b64 s[0:1], s[10:11]
	s_mov_b32 s14, 0
	s_cbranch_execnz .LBB4_300
.LBB4_299:                              ;   in Loop: Header=BB4_276 Depth=1
	global_load_dwordx2 v[12:13], v26, s[10:11]
	s_add_i32 s14, s15, -8
.LBB4_300:                              ;   in Loop: Header=BB4_276 Depth=1
	s_add_u32 s10, s0, 8
	s_addc_u32 s11, s1, 0
	s_cmp_gt_u32 s14, 7
	s_cbranch_scc1 .LBB4_304
; %bb.301:                              ;   in Loop: Header=BB4_276 Depth=1
	s_cmp_eq_u32 s14, 0
	s_cbranch_scc1 .LBB4_305
; %bb.302:                              ;   in Loop: Header=BB4_276 Depth=1
	v_mov_b32_e32 v14, 0
	s_mov_b64 s[10:11], 0
	v_mov_b32_e32 v15, 0
	s_mov_b64 s[12:13], 0
.LBB4_303:                              ;   Parent Loop BB4_276 Depth=1
                                        ; =>  This Inner Loop Header: Depth=2
	s_add_u32 s16, s0, s12
	s_addc_u32 s17, s1, s13
	global_load_ubyte v6, v26, s[16:17]
	s_add_u32 s12, s12, 1
	s_addc_u32 s13, s13, 0
	s_waitcnt vmcnt(0)
	v_and_b32_e32 v25, 0xffff, v6
	v_lshlrev_b64 v[6:7], s10, v[25:26]
	s_add_u32 s10, s10, 8
	s_addc_u32 s11, s11, 0
	v_or_b32_e32 v14, v6, v14
	s_cmp_lg_u32 s14, s12
	v_or_b32_e32 v15, v7, v15
	s_cbranch_scc1 .LBB4_303
	s_branch .LBB4_306
.LBB4_304:                              ;   in Loop: Header=BB4_276 Depth=1
                                        ; implicit-def: $vgpr14_vgpr15
	s_mov_b32 s15, 0
	s_branch .LBB4_307
.LBB4_305:                              ;   in Loop: Header=BB4_276 Depth=1
	v_mov_b32_e32 v14, 0
	v_mov_b32_e32 v15, 0
.LBB4_306:                              ;   in Loop: Header=BB4_276 Depth=1
	s_mov_b64 s[10:11], s[0:1]
	s_mov_b32 s15, 0
	s_cbranch_execnz .LBB4_308
.LBB4_307:                              ;   in Loop: Header=BB4_276 Depth=1
	global_load_dwordx2 v[14:15], v26, s[0:1]
	s_add_i32 s15, s14, -8
.LBB4_308:                              ;   in Loop: Header=BB4_276 Depth=1
	s_add_u32 s0, s10, 8
	s_addc_u32 s1, s11, 0
	s_cmp_gt_u32 s15, 7
	s_cbranch_scc1 .LBB4_312
; %bb.309:                              ;   in Loop: Header=BB4_276 Depth=1
	s_cmp_eq_u32 s15, 0
	s_cbranch_scc1 .LBB4_313
; %bb.310:                              ;   in Loop: Header=BB4_276 Depth=1
	v_mov_b32_e32 v16, 0
	s_mov_b64 s[0:1], 0
	v_mov_b32_e32 v17, 0
	s_mov_b64 s[12:13], 0
.LBB4_311:                              ;   Parent Loop BB4_276 Depth=1
                                        ; =>  This Inner Loop Header: Depth=2
	s_add_u32 s16, s10, s12
	s_addc_u32 s17, s11, s13
	global_load_ubyte v6, v26, s[16:17]
	s_add_u32 s12, s12, 1
	s_addc_u32 s13, s13, 0
	s_waitcnt vmcnt(0)
	v_and_b32_e32 v25, 0xffff, v6
	v_lshlrev_b64 v[6:7], s0, v[25:26]
	s_add_u32 s0, s0, 8
	s_addc_u32 s1, s1, 0
	v_or_b32_e32 v16, v6, v16
	s_cmp_lg_u32 s15, s12
	v_or_b32_e32 v17, v7, v17
	s_cbranch_scc1 .LBB4_311
	s_branch .LBB4_314
.LBB4_312:                              ;   in Loop: Header=BB4_276 Depth=1
	s_mov_b32 s14, 0
	s_branch .LBB4_315
.LBB4_313:                              ;   in Loop: Header=BB4_276 Depth=1
	v_mov_b32_e32 v16, 0
	v_mov_b32_e32 v17, 0
.LBB4_314:                              ;   in Loop: Header=BB4_276 Depth=1
	s_mov_b64 s[0:1], s[10:11]
	s_mov_b32 s14, 0
	s_cbranch_execnz .LBB4_316
.LBB4_315:                              ;   in Loop: Header=BB4_276 Depth=1
	global_load_dwordx2 v[16:17], v26, s[10:11]
	s_add_i32 s14, s15, -8
.LBB4_316:                              ;   in Loop: Header=BB4_276 Depth=1
	s_add_u32 s10, s0, 8
	s_addc_u32 s11, s1, 0
	s_cmp_gt_u32 s14, 7
	s_cbranch_scc1 .LBB4_320
; %bb.317:                              ;   in Loop: Header=BB4_276 Depth=1
	s_cmp_eq_u32 s14, 0
	s_cbranch_scc1 .LBB4_321
; %bb.318:                              ;   in Loop: Header=BB4_276 Depth=1
	v_mov_b32_e32 v18, 0
	s_mov_b64 s[10:11], 0
	v_mov_b32_e32 v19, 0
	s_mov_b64 s[12:13], 0
.LBB4_319:                              ;   Parent Loop BB4_276 Depth=1
                                        ; =>  This Inner Loop Header: Depth=2
	s_add_u32 s16, s0, s12
	s_addc_u32 s17, s1, s13
	global_load_ubyte v6, v26, s[16:17]
	s_add_u32 s12, s12, 1
	s_addc_u32 s13, s13, 0
	s_waitcnt vmcnt(0)
	v_and_b32_e32 v25, 0xffff, v6
	v_lshlrev_b64 v[6:7], s10, v[25:26]
	s_add_u32 s10, s10, 8
	s_addc_u32 s11, s11, 0
	v_or_b32_e32 v18, v6, v18
	s_cmp_lg_u32 s14, s12
	v_or_b32_e32 v19, v7, v19
	s_cbranch_scc1 .LBB4_319
	s_branch .LBB4_322
.LBB4_320:                              ;   in Loop: Header=BB4_276 Depth=1
                                        ; implicit-def: $vgpr18_vgpr19
	s_mov_b32 s15, 0
	s_branch .LBB4_323
.LBB4_321:                              ;   in Loop: Header=BB4_276 Depth=1
	v_mov_b32_e32 v18, 0
	v_mov_b32_e32 v19, 0
.LBB4_322:                              ;   in Loop: Header=BB4_276 Depth=1
	s_mov_b64 s[10:11], s[0:1]
	s_mov_b32 s15, 0
	s_cbranch_execnz .LBB4_324
.LBB4_323:                              ;   in Loop: Header=BB4_276 Depth=1
	global_load_dwordx2 v[18:19], v26, s[0:1]
	s_add_i32 s15, s14, -8
.LBB4_324:                              ;   in Loop: Header=BB4_276 Depth=1
	s_cmp_gt_u32 s15, 7
	s_cbranch_scc1 .LBB4_328
; %bb.325:                              ;   in Loop: Header=BB4_276 Depth=1
	s_cmp_eq_u32 s15, 0
	s_cbranch_scc1 .LBB4_329
; %bb.326:                              ;   in Loop: Header=BB4_276 Depth=1
	v_mov_b32_e32 v20, 0
	s_mov_b64 s[0:1], 0
	v_mov_b32_e32 v21, 0
	s_mov_b64 s[12:13], s[10:11]
.LBB4_327:                              ;   Parent Loop BB4_276 Depth=1
                                        ; =>  This Inner Loop Header: Depth=2
	global_load_ubyte v6, v26, s[12:13]
	s_add_i32 s15, s15, -1
	s_waitcnt vmcnt(0)
	v_and_b32_e32 v25, 0xffff, v6
	v_lshlrev_b64 v[6:7], s0, v[25:26]
	s_add_u32 s0, s0, 8
	s_addc_u32 s1, s1, 0
	s_add_u32 s12, s12, 1
	s_addc_u32 s13, s13, 0
	v_or_b32_e32 v20, v6, v20
	s_cmp_lg_u32 s15, 0
	v_or_b32_e32 v21, v7, v21
	s_cbranch_scc1 .LBB4_327
	s_branch .LBB4_330
.LBB4_328:                              ;   in Loop: Header=BB4_276 Depth=1
	s_branch .LBB4_331
.LBB4_329:                              ;   in Loop: Header=BB4_276 Depth=1
	v_mov_b32_e32 v20, 0
	v_mov_b32_e32 v21, 0
.LBB4_330:                              ;   in Loop: Header=BB4_276 Depth=1
	s_cbranch_execnz .LBB4_332
.LBB4_331:                              ;   in Loop: Header=BB4_276 Depth=1
	global_load_dwordx2 v[20:21], v26, s[10:11]
.LBB4_332:                              ;   in Loop: Header=BB4_276 Depth=1
	v_readfirstlane_b32 s0, v32
	v_mov_b32_e32 v6, 0
	v_mov_b32_e32 v7, 0
	v_cmp_eq_u32_e64 s[0:1], s0, v32
	s_and_saveexec_b64 s[10:11], s[0:1]
	s_cbranch_execz .LBB4_338
; %bb.333:                              ;   in Loop: Header=BB4_276 Depth=1
	global_load_dwordx2 v[24:25], v26, s[2:3] offset:24 glc
	s_waitcnt vmcnt(0)
	buffer_wbinvl1_vol
	global_load_dwordx2 v[6:7], v26, s[2:3] offset:40
	global_load_dwordx2 v[22:23], v26, s[2:3]
	s_waitcnt vmcnt(1)
	v_and_b32_e32 v6, v6, v24
	v_and_b32_e32 v7, v7, v25
	v_mul_lo_u32 v7, v7, 24
	v_mul_hi_u32 v27, v6, 24
	v_mul_lo_u32 v6, v6, 24
	v_add_u32_e32 v7, v27, v7
	s_waitcnt vmcnt(0)
	v_add_co_u32_e32 v6, vcc, v22, v6
	v_addc_co_u32_e32 v7, vcc, v23, v7, vcc
	global_load_dwordx2 v[22:23], v[6:7], off glc
	s_waitcnt vmcnt(0)
	global_atomic_cmpswap_x2 v[6:7], v26, v[22:25], s[2:3] offset:24 glc
	s_waitcnt vmcnt(0)
	buffer_wbinvl1_vol
	v_cmp_ne_u64_e32 vcc, v[6:7], v[24:25]
	s_and_saveexec_b64 s[12:13], vcc
	s_cbranch_execz .LBB4_337
; %bb.334:                              ;   in Loop: Header=BB4_276 Depth=1
	s_mov_b64 s[14:15], 0
.LBB4_335:                              ;   Parent Loop BB4_276 Depth=1
                                        ; =>  This Inner Loop Header: Depth=2
	s_sleep 1
	global_load_dwordx2 v[22:23], v26, s[2:3] offset:40
	global_load_dwordx2 v[27:28], v26, s[2:3]
	v_mov_b32_e32 v25, v7
	v_mov_b32_e32 v24, v6
	s_waitcnt vmcnt(1)
	v_and_b32_e32 v6, v22, v24
	s_waitcnt vmcnt(0)
	v_mad_u64_u32 v[6:7], s[16:17], v6, 24, v[27:28]
	v_and_b32_e32 v22, v23, v25
	v_mad_u64_u32 v[22:23], s[16:17], v22, 24, v[7:8]
	v_mov_b32_e32 v7, v22
	global_load_dwordx2 v[22:23], v[6:7], off glc
	s_waitcnt vmcnt(0)
	global_atomic_cmpswap_x2 v[6:7], v26, v[22:25], s[2:3] offset:24 glc
	s_waitcnt vmcnt(0)
	buffer_wbinvl1_vol
	v_cmp_eq_u64_e32 vcc, v[6:7], v[24:25]
	s_or_b64 s[14:15], vcc, s[14:15]
	s_andn2_b64 exec, exec, s[14:15]
	s_cbranch_execnz .LBB4_335
; %bb.336:                              ;   in Loop: Header=BB4_276 Depth=1
	s_or_b64 exec, exec, s[14:15]
.LBB4_337:                              ;   in Loop: Header=BB4_276 Depth=1
	s_or_b64 exec, exec, s[12:13]
.LBB4_338:                              ;   in Loop: Header=BB4_276 Depth=1
	s_or_b64 exec, exec, s[10:11]
	global_load_dwordx2 v[27:28], v26, s[2:3] offset:40
	global_load_dwordx4 v[22:25], v26, s[2:3]
	v_readfirstlane_b32 s11, v7
	v_readfirstlane_b32 s10, v6
	s_mov_b64 s[12:13], exec
	s_waitcnt vmcnt(1)
	v_readfirstlane_b32 s14, v27
	v_readfirstlane_b32 s15, v28
	s_and_b64 s[14:15], s[14:15], s[10:11]
	s_mul_i32 s16, s15, 24
	s_mul_hi_u32 s17, s14, 24
	s_mul_i32 s18, s14, 24
	s_add_i32 s16, s17, s16
	v_mov_b32_e32 v6, s16
	s_waitcnt vmcnt(0)
	v_add_co_u32_e32 v27, vcc, s18, v22
	v_addc_co_u32_e32 v28, vcc, v23, v6, vcc
	s_and_saveexec_b64 s[16:17], s[0:1]
	s_cbranch_execz .LBB4_340
; %bb.339:                              ;   in Loop: Header=BB4_276 Depth=1
	v_mov_b32_e32 v6, s12
	v_mov_b32_e32 v7, s13
	global_store_dwordx4 v[27:28], v[6:9], off offset:8
.LBB4_340:                              ;   in Loop: Header=BB4_276 Depth=1
	s_or_b64 exec, exec, s[16:17]
	s_lshl_b64 s[12:13], s[14:15], 12
	v_mov_b32_e32 v6, s13
	v_add_co_u32_e32 v24, vcc, s12, v24
	v_addc_co_u32_e32 v30, vcc, v25, v6, vcc
	v_cmp_lt_u64_e64 vcc, s[6:7], 57
	s_lshl_b32 s12, s8, 2
	v_cndmask_b32_e32 v6, 0, v29, vcc
	s_add_i32 s12, s12, 28
	v_and_b32_e32 v2, 0xffffff1f, v2
	s_and_b32 s12, s12, 0x1e0
	v_or_b32_e32 v2, v2, v6
	v_or_b32_e32 v2, s12, v2
	v_readfirstlane_b32 s12, v24
	v_readfirstlane_b32 s13, v30
	s_nop 4
	global_store_dwordx4 v31, v[2:5], s[12:13]
	global_store_dwordx4 v31, v[10:13], s[12:13] offset:16
	global_store_dwordx4 v31, v[14:17], s[12:13] offset:32
	;; [unrolled: 1-line block ×3, first 2 shown]
	s_and_saveexec_b64 s[12:13], s[0:1]
	s_cbranch_execz .LBB4_348
; %bb.341:                              ;   in Loop: Header=BB4_276 Depth=1
	global_load_dwordx2 v[12:13], v26, s[2:3] offset:32 glc
	global_load_dwordx2 v[2:3], v26, s[2:3] offset:40
	v_mov_b32_e32 v10, s10
	v_mov_b32_e32 v11, s11
	s_waitcnt vmcnt(0)
	v_readfirstlane_b32 s14, v2
	v_readfirstlane_b32 s15, v3
	s_and_b64 s[14:15], s[14:15], s[10:11]
	s_mul_i32 s15, s15, 24
	s_mul_hi_u32 s16, s14, 24
	s_mul_i32 s14, s14, 24
	s_add_i32 s15, s16, s15
	v_mov_b32_e32 v2, s15
	v_add_co_u32_e32 v6, vcc, s14, v22
	v_addc_co_u32_e32 v7, vcc, v23, v2, vcc
	global_store_dwordx2 v[6:7], v[12:13], off
	s_waitcnt vmcnt(0)
	global_atomic_cmpswap_x2 v[4:5], v26, v[10:13], s[2:3] offset:32 glc
	s_waitcnt vmcnt(0)
	v_cmp_ne_u64_e32 vcc, v[4:5], v[12:13]
	s_and_saveexec_b64 s[14:15], vcc
	s_cbranch_execz .LBB4_344
; %bb.342:                              ;   in Loop: Header=BB4_276 Depth=1
	s_mov_b64 s[16:17], 0
.LBB4_343:                              ;   Parent Loop BB4_276 Depth=1
                                        ; =>  This Inner Loop Header: Depth=2
	s_sleep 1
	global_store_dwordx2 v[6:7], v[4:5], off
	v_mov_b32_e32 v2, s10
	v_mov_b32_e32 v3, s11
	s_waitcnt vmcnt(0)
	global_atomic_cmpswap_x2 v[2:3], v26, v[2:5], s[2:3] offset:32 glc
	s_waitcnt vmcnt(0)
	v_cmp_eq_u64_e32 vcc, v[2:3], v[4:5]
	v_mov_b32_e32 v5, v3
	s_or_b64 s[16:17], vcc, s[16:17]
	v_mov_b32_e32 v4, v2
	s_andn2_b64 exec, exec, s[16:17]
	s_cbranch_execnz .LBB4_343
.LBB4_344:                              ;   in Loop: Header=BB4_276 Depth=1
	s_or_b64 exec, exec, s[14:15]
	global_load_dwordx2 v[2:3], v26, s[2:3] offset:16
	s_mov_b64 s[16:17], exec
	v_mbcnt_lo_u32_b32 v4, s16, 0
	v_mbcnt_hi_u32_b32 v4, s17, v4
	v_cmp_eq_u32_e32 vcc, 0, v4
	s_and_saveexec_b64 s[14:15], vcc
	s_cbranch_execz .LBB4_346
; %bb.345:                              ;   in Loop: Header=BB4_276 Depth=1
	s_bcnt1_i32_b64 s16, s[16:17]
	v_mov_b32_e32 v25, s16
	s_waitcnt vmcnt(0)
	global_atomic_add_x2 v[2:3], v[25:26], off offset:8
.LBB4_346:                              ;   in Loop: Header=BB4_276 Depth=1
	s_or_b64 exec, exec, s[14:15]
	s_waitcnt vmcnt(0)
	global_load_dwordx2 v[4:5], v[2:3], off offset:16
	s_waitcnt vmcnt(0)
	v_cmp_eq_u64_e32 vcc, 0, v[4:5]
	s_cbranch_vccnz .LBB4_348
; %bb.347:                              ;   in Loop: Header=BB4_276 Depth=1
	global_load_dword v25, v[2:3], off offset:24
	s_waitcnt vmcnt(0)
	v_readfirstlane_b32 s14, v25
	s_and_b32 m0, s14, 0xffffff
	global_store_dwordx2 v[4:5], v[25:26], off
	s_sendmsg sendmsg(MSG_INTERRUPT)
.LBB4_348:                              ;   in Loop: Header=BB4_276 Depth=1
	s_or_b64 exec, exec, s[12:13]
	v_add_co_u32_e32 v2, vcc, v24, v31
	v_addc_co_u32_e32 v3, vcc, 0, v30, vcc
	s_branch .LBB4_352
.LBB4_349:                              ;   in Loop: Header=BB4_352 Depth=2
	s_or_b64 exec, exec, s[12:13]
	v_readfirstlane_b32 s12, v4
	s_cmp_eq_u32 s12, 0
	s_cbranch_scc1 .LBB4_351
; %bb.350:                              ;   in Loop: Header=BB4_352 Depth=2
	s_sleep 1
	s_cbranch_execnz .LBB4_352
	s_branch .LBB4_354
.LBB4_351:                              ;   in Loop: Header=BB4_276 Depth=1
	s_branch .LBB4_354
.LBB4_352:                              ;   Parent Loop BB4_276 Depth=1
                                        ; =>  This Inner Loop Header: Depth=2
	v_mov_b32_e32 v4, 1
	s_and_saveexec_b64 s[12:13], s[0:1]
	s_cbranch_execz .LBB4_349
; %bb.353:                              ;   in Loop: Header=BB4_352 Depth=2
	global_load_dword v4, v[27:28], off offset:20 glc
	s_waitcnt vmcnt(0)
	buffer_wbinvl1_vol
	v_and_b32_e32 v4, 1, v4
	s_branch .LBB4_349
.LBB4_354:                              ;   in Loop: Header=BB4_276 Depth=1
	global_load_dwordx2 v[2:3], v[2:3], off
	s_and_saveexec_b64 s[12:13], s[0:1]
	s_cbranch_execz .LBB4_275
; %bb.355:                              ;   in Loop: Header=BB4_276 Depth=1
	global_load_dwordx2 v[4:5], v26, s[2:3] offset:40
	global_load_dwordx2 v[14:15], v26, s[2:3] offset:24 glc
	global_load_dwordx2 v[6:7], v26, s[2:3]
	s_waitcnt vmcnt(2)
	v_readfirstlane_b32 s14, v4
	v_readfirstlane_b32 s15, v5
	s_add_u32 s16, s14, 1
	s_addc_u32 s17, s15, 0
	s_add_u32 s0, s16, s10
	s_addc_u32 s1, s17, s11
	s_cmp_eq_u64 s[0:1], 0
	s_cselect_b32 s1, s17, s1
	s_cselect_b32 s0, s16, s0
	s_and_b64 s[10:11], s[0:1], s[14:15]
	s_mul_i32 s11, s11, 24
	s_mul_hi_u32 s14, s10, 24
	s_mul_i32 s10, s10, 24
	s_add_i32 s11, s14, s11
	v_mov_b32_e32 v4, s11
	s_waitcnt vmcnt(0)
	v_add_co_u32_e32 v10, vcc, s10, v6
	v_addc_co_u32_e32 v11, vcc, v7, v4, vcc
	v_mov_b32_e32 v12, s0
	global_store_dwordx2 v[10:11], v[14:15], off
	v_mov_b32_e32 v13, s1
	s_waitcnt vmcnt(0)
	global_atomic_cmpswap_x2 v[6:7], v26, v[12:15], s[2:3] offset:24 glc
	s_waitcnt vmcnt(0)
	v_cmp_ne_u64_e32 vcc, v[6:7], v[14:15]
	s_and_b64 exec, exec, vcc
	s_cbranch_execz .LBB4_275
; %bb.356:                              ;   in Loop: Header=BB4_276 Depth=1
	s_mov_b64 s[10:11], 0
.LBB4_357:                              ;   Parent Loop BB4_276 Depth=1
                                        ; =>  This Inner Loop Header: Depth=2
	s_sleep 1
	global_store_dwordx2 v[10:11], v[6:7], off
	v_mov_b32_e32 v4, s0
	v_mov_b32_e32 v5, s1
	s_waitcnt vmcnt(0)
	global_atomic_cmpswap_x2 v[4:5], v26, v[4:7], s[2:3] offset:24 glc
	s_waitcnt vmcnt(0)
	v_cmp_eq_u64_e32 vcc, v[4:5], v[6:7]
	v_mov_b32_e32 v7, v5
	s_or_b64 s[10:11], vcc, s[10:11]
	v_mov_b32_e32 v6, v4
	s_andn2_b64 exec, exec, s[10:11]
	s_cbranch_execnz .LBB4_357
	s_branch .LBB4_275
.LBB4_358:
	s_mov_b64 s[0:1], -1
                                        ; implicit-def: $vgpr2_vgpr3
	s_branch .LBB4_360
.LBB4_359:
	s_mov_b64 s[0:1], 0
.LBB4_360:
	s_and_b64 vcc, exec, s[0:1]
	s_cbranch_vccz .LBB4_387
; %bb.361:
	v_readfirstlane_b32 s0, v32
	v_mov_b32_e32 v8, 0
	v_mov_b32_e32 v9, 0
	v_cmp_eq_u32_e64 s[0:1], s0, v32
	s_and_saveexec_b64 s[4:5], s[0:1]
	s_cbranch_execz .LBB4_367
; %bb.362:
	s_waitcnt vmcnt(0)
	v_mov_b32_e32 v2, 0
	global_load_dwordx2 v[5:6], v2, s[2:3] offset:24 glc
	s_waitcnt vmcnt(0)
	buffer_wbinvl1_vol
	global_load_dwordx2 v[3:4], v2, s[2:3] offset:40
	global_load_dwordx2 v[7:8], v2, s[2:3]
	s_waitcnt vmcnt(1)
	v_and_b32_e32 v3, v3, v5
	v_and_b32_e32 v4, v4, v6
	v_mul_lo_u32 v4, v4, 24
	v_mul_hi_u32 v9, v3, 24
	v_mul_lo_u32 v3, v3, 24
	v_add_u32_e32 v4, v9, v4
	s_waitcnt vmcnt(0)
	v_add_co_u32_e32 v3, vcc, v7, v3
	v_addc_co_u32_e32 v4, vcc, v8, v4, vcc
	global_load_dwordx2 v[3:4], v[3:4], off glc
	s_waitcnt vmcnt(0)
	global_atomic_cmpswap_x2 v[8:9], v2, v[3:6], s[2:3] offset:24 glc
	s_waitcnt vmcnt(0)
	buffer_wbinvl1_vol
	v_cmp_ne_u64_e32 vcc, v[8:9], v[5:6]
	s_and_saveexec_b64 s[6:7], vcc
	s_cbranch_execz .LBB4_366
; %bb.363:
	s_mov_b64 s[8:9], 0
.LBB4_364:                              ; =>This Inner Loop Header: Depth=1
	s_sleep 1
	global_load_dwordx2 v[3:4], v2, s[2:3] offset:40
	global_load_dwordx2 v[10:11], v2, s[2:3]
	v_mov_b32_e32 v5, v8
	v_mov_b32_e32 v6, v9
	s_waitcnt vmcnt(1)
	v_and_b32_e32 v3, v3, v5
	s_waitcnt vmcnt(0)
	v_mad_u64_u32 v[7:8], s[10:11], v3, 24, v[10:11]
	v_and_b32_e32 v4, v4, v6
	v_mov_b32_e32 v3, v8
	v_mad_u64_u32 v[3:4], s[10:11], v4, 24, v[3:4]
	v_mov_b32_e32 v8, v3
	global_load_dwordx2 v[3:4], v[7:8], off glc
	s_waitcnt vmcnt(0)
	global_atomic_cmpswap_x2 v[8:9], v2, v[3:6], s[2:3] offset:24 glc
	s_waitcnt vmcnt(0)
	buffer_wbinvl1_vol
	v_cmp_eq_u64_e32 vcc, v[8:9], v[5:6]
	s_or_b64 s[8:9], vcc, s[8:9]
	s_andn2_b64 exec, exec, s[8:9]
	s_cbranch_execnz .LBB4_364
; %bb.365:
	s_or_b64 exec, exec, s[8:9]
.LBB4_366:
	s_or_b64 exec, exec, s[6:7]
.LBB4_367:
	s_or_b64 exec, exec, s[4:5]
	s_waitcnt vmcnt(0)
	v_mov_b32_e32 v2, 0
	global_load_dwordx2 v[10:11], v2, s[2:3] offset:40
	global_load_dwordx4 v[4:7], v2, s[2:3]
	v_readfirstlane_b32 s5, v9
	v_readfirstlane_b32 s4, v8
	s_mov_b64 s[6:7], exec
	s_waitcnt vmcnt(1)
	v_readfirstlane_b32 s8, v10
	v_readfirstlane_b32 s9, v11
	s_and_b64 s[8:9], s[8:9], s[4:5]
	s_mul_i32 s10, s9, 24
	s_mul_hi_u32 s11, s8, 24
	s_mul_i32 s12, s8, 24
	s_add_i32 s10, s11, s10
	v_mov_b32_e32 v3, s10
	s_waitcnt vmcnt(0)
	v_add_co_u32_e32 v8, vcc, s12, v4
	v_addc_co_u32_e32 v9, vcc, v5, v3, vcc
	s_and_saveexec_b64 s[10:11], s[0:1]
	s_cbranch_execz .LBB4_369
; %bb.368:
	v_mov_b32_e32 v11, s7
	v_mov_b32_e32 v10, s6
	;; [unrolled: 1-line block ×4, first 2 shown]
	global_store_dwordx4 v[8:9], v[10:13], off offset:8
.LBB4_369:
	s_or_b64 exec, exec, s[10:11]
	s_lshl_b64 s[6:7], s[8:9], 12
	v_mov_b32_e32 v3, s7
	v_add_co_u32_e32 v10, vcc, s6, v6
	v_addc_co_u32_e32 v11, vcc, v7, v3, vcc
	s_movk_i32 s6, 0xff1f
	v_and_or_b32 v0, v0, s6, 32
	s_mov_b32 s8, 0
	v_mov_b32_e32 v3, v2
	v_readfirstlane_b32 s6, v10
	v_readfirstlane_b32 s7, v11
	v_add_co_u32_e32 v6, vcc, v10, v31
	s_mov_b32 s9, s8
	s_mov_b32 s10, s8
	;; [unrolled: 1-line block ×3, first 2 shown]
	s_nop 0
	global_store_dwordx4 v31, v[0:3], s[6:7]
	v_addc_co_u32_e32 v7, vcc, 0, v11, vcc
	v_mov_b32_e32 v0, s8
	v_mov_b32_e32 v1, s9
	;; [unrolled: 1-line block ×4, first 2 shown]
	global_store_dwordx4 v31, v[0:3], s[6:7] offset:16
	global_store_dwordx4 v31, v[0:3], s[6:7] offset:32
	;; [unrolled: 1-line block ×3, first 2 shown]
	s_and_saveexec_b64 s[6:7], s[0:1]
	s_cbranch_execz .LBB4_377
; %bb.370:
	v_mov_b32_e32 v10, 0
	global_load_dwordx2 v[13:14], v10, s[2:3] offset:32 glc
	global_load_dwordx2 v[0:1], v10, s[2:3] offset:40
	v_mov_b32_e32 v11, s4
	v_mov_b32_e32 v12, s5
	s_waitcnt vmcnt(0)
	v_readfirstlane_b32 s8, v0
	v_readfirstlane_b32 s9, v1
	s_and_b64 s[8:9], s[8:9], s[4:5]
	s_mul_i32 s9, s9, 24
	s_mul_hi_u32 s10, s8, 24
	s_mul_i32 s8, s8, 24
	s_add_i32 s9, s10, s9
	v_mov_b32_e32 v0, s9
	v_add_co_u32_e32 v4, vcc, s8, v4
	v_addc_co_u32_e32 v5, vcc, v5, v0, vcc
	global_store_dwordx2 v[4:5], v[13:14], off
	s_waitcnt vmcnt(0)
	global_atomic_cmpswap_x2 v[2:3], v10, v[11:14], s[2:3] offset:32 glc
	s_waitcnt vmcnt(0)
	v_cmp_ne_u64_e32 vcc, v[2:3], v[13:14]
	s_and_saveexec_b64 s[8:9], vcc
	s_cbranch_execz .LBB4_373
; %bb.371:
	s_mov_b64 s[10:11], 0
.LBB4_372:                              ; =>This Inner Loop Header: Depth=1
	s_sleep 1
	global_store_dwordx2 v[4:5], v[2:3], off
	v_mov_b32_e32 v0, s4
	v_mov_b32_e32 v1, s5
	s_waitcnt vmcnt(0)
	global_atomic_cmpswap_x2 v[0:1], v10, v[0:3], s[2:3] offset:32 glc
	s_waitcnt vmcnt(0)
	v_cmp_eq_u64_e32 vcc, v[0:1], v[2:3]
	v_mov_b32_e32 v3, v1
	s_or_b64 s[10:11], vcc, s[10:11]
	v_mov_b32_e32 v2, v0
	s_andn2_b64 exec, exec, s[10:11]
	s_cbranch_execnz .LBB4_372
.LBB4_373:
	s_or_b64 exec, exec, s[8:9]
	v_mov_b32_e32 v3, 0
	global_load_dwordx2 v[0:1], v3, s[2:3] offset:16
	s_mov_b64 s[8:9], exec
	v_mbcnt_lo_u32_b32 v2, s8, 0
	v_mbcnt_hi_u32_b32 v2, s9, v2
	v_cmp_eq_u32_e32 vcc, 0, v2
	s_and_saveexec_b64 s[10:11], vcc
	s_cbranch_execz .LBB4_375
; %bb.374:
	s_bcnt1_i32_b64 s8, s[8:9]
	v_mov_b32_e32 v2, s8
	s_waitcnt vmcnt(0)
	global_atomic_add_x2 v[0:1], v[2:3], off offset:8
.LBB4_375:
	s_or_b64 exec, exec, s[10:11]
	s_waitcnt vmcnt(0)
	global_load_dwordx2 v[2:3], v[0:1], off offset:16
	s_waitcnt vmcnt(0)
	v_cmp_eq_u64_e32 vcc, 0, v[2:3]
	s_cbranch_vccnz .LBB4_377
; %bb.376:
	global_load_dword v0, v[0:1], off offset:24
	v_mov_b32_e32 v1, 0
	s_waitcnt vmcnt(0)
	v_readfirstlane_b32 s8, v0
	s_and_b32 m0, s8, 0xffffff
	global_store_dwordx2 v[2:3], v[0:1], off
	s_sendmsg sendmsg(MSG_INTERRUPT)
.LBB4_377:
	s_or_b64 exec, exec, s[6:7]
	s_branch .LBB4_381
.LBB4_378:                              ;   in Loop: Header=BB4_381 Depth=1
	s_or_b64 exec, exec, s[6:7]
	v_readfirstlane_b32 s6, v0
	s_cmp_eq_u32 s6, 0
	s_cbranch_scc1 .LBB4_380
; %bb.379:                              ;   in Loop: Header=BB4_381 Depth=1
	s_sleep 1
	s_cbranch_execnz .LBB4_381
	s_branch .LBB4_383
.LBB4_380:
	s_branch .LBB4_383
.LBB4_381:                              ; =>This Inner Loop Header: Depth=1
	v_mov_b32_e32 v0, 1
	s_and_saveexec_b64 s[6:7], s[0:1]
	s_cbranch_execz .LBB4_378
; %bb.382:                              ;   in Loop: Header=BB4_381 Depth=1
	global_load_dword v0, v[8:9], off offset:20 glc
	s_waitcnt vmcnt(0)
	buffer_wbinvl1_vol
	v_and_b32_e32 v0, 1, v0
	s_branch .LBB4_378
.LBB4_383:
	global_load_dwordx2 v[2:3], v[6:7], off
	s_and_saveexec_b64 s[6:7], s[0:1]
	s_cbranch_execz .LBB4_386
; %bb.384:
	v_mov_b32_e32 v8, 0
	global_load_dwordx2 v[0:1], v8, s[2:3] offset:40
	global_load_dwordx2 v[11:12], v8, s[2:3] offset:24 glc
	global_load_dwordx2 v[4:5], v8, s[2:3]
	s_waitcnt vmcnt(2)
	v_readfirstlane_b32 s8, v0
	v_readfirstlane_b32 s9, v1
	s_add_u32 s10, s8, 1
	s_addc_u32 s11, s9, 0
	s_add_u32 s0, s10, s4
	s_addc_u32 s1, s11, s5
	s_cmp_eq_u64 s[0:1], 0
	s_cselect_b32 s1, s11, s1
	s_cselect_b32 s0, s10, s0
	s_and_b64 s[4:5], s[0:1], s[8:9]
	s_mul_i32 s5, s5, 24
	s_mul_hi_u32 s8, s4, 24
	s_mul_i32 s4, s4, 24
	s_add_i32 s5, s8, s5
	v_mov_b32_e32 v1, s5
	s_waitcnt vmcnt(0)
	v_add_co_u32_e32 v0, vcc, s4, v4
	v_addc_co_u32_e32 v1, vcc, v5, v1, vcc
	v_mov_b32_e32 v9, s0
	global_store_dwordx2 v[0:1], v[11:12], off
	v_mov_b32_e32 v10, s1
	s_waitcnt vmcnt(0)
	global_atomic_cmpswap_x2 v[6:7], v8, v[9:12], s[2:3] offset:24 glc
	s_mov_b64 s[4:5], 0
	s_waitcnt vmcnt(0)
	v_cmp_ne_u64_e32 vcc, v[6:7], v[11:12]
	s_and_b64 exec, exec, vcc
	s_cbranch_execz .LBB4_386
.LBB4_385:                              ; =>This Inner Loop Header: Depth=1
	s_sleep 1
	global_store_dwordx2 v[0:1], v[6:7], off
	v_mov_b32_e32 v4, s0
	v_mov_b32_e32 v5, s1
	s_waitcnt vmcnt(0)
	global_atomic_cmpswap_x2 v[4:5], v8, v[4:7], s[2:3] offset:24 glc
	s_waitcnt vmcnt(0)
	v_cmp_eq_u64_e32 vcc, v[4:5], v[6:7]
	v_mov_b32_e32 v7, v5
	s_or_b64 s[4:5], vcc, s[4:5]
	v_mov_b32_e32 v6, v4
	s_andn2_b64 exec, exec, s[4:5]
	s_cbranch_execnz .LBB4_385
.LBB4_386:
	s_or_b64 exec, exec, s[6:7]
.LBB4_387:
	v_readfirstlane_b32 s0, v32
	s_waitcnt vmcnt(0)
	v_mov_b32_e32 v0, 0
	v_mov_b32_e32 v1, 0
	v_cmp_eq_u32_e64 s[0:1], s0, v32
	s_and_saveexec_b64 s[4:5], s[0:1]
	s_cbranch_execz .LBB4_393
; %bb.388:
	v_mov_b32_e32 v4, 0
	global_load_dwordx2 v[7:8], v4, s[2:3] offset:24 glc
	s_waitcnt vmcnt(0)
	buffer_wbinvl1_vol
	global_load_dwordx2 v[0:1], v4, s[2:3] offset:40
	global_load_dwordx2 v[5:6], v4, s[2:3]
	s_waitcnt vmcnt(1)
	v_and_b32_e32 v0, v0, v7
	v_and_b32_e32 v1, v1, v8
	v_mul_lo_u32 v1, v1, 24
	v_mul_hi_u32 v9, v0, 24
	v_mul_lo_u32 v0, v0, 24
	v_add_u32_e32 v1, v9, v1
	s_waitcnt vmcnt(0)
	v_add_co_u32_e32 v0, vcc, v5, v0
	v_addc_co_u32_e32 v1, vcc, v6, v1, vcc
	global_load_dwordx2 v[5:6], v[0:1], off glc
	s_waitcnt vmcnt(0)
	global_atomic_cmpswap_x2 v[0:1], v4, v[5:8], s[2:3] offset:24 glc
	s_waitcnt vmcnt(0)
	buffer_wbinvl1_vol
	v_cmp_ne_u64_e32 vcc, v[0:1], v[7:8]
	s_and_saveexec_b64 s[6:7], vcc
	s_cbranch_execz .LBB4_392
; %bb.389:
	s_mov_b64 s[8:9], 0
.LBB4_390:                              ; =>This Inner Loop Header: Depth=1
	s_sleep 1
	global_load_dwordx2 v[5:6], v4, s[2:3] offset:40
	global_load_dwordx2 v[9:10], v4, s[2:3]
	v_mov_b32_e32 v8, v1
	v_mov_b32_e32 v7, v0
	s_waitcnt vmcnt(1)
	v_and_b32_e32 v0, v5, v7
	s_waitcnt vmcnt(0)
	v_mad_u64_u32 v[0:1], s[10:11], v0, 24, v[9:10]
	v_and_b32_e32 v5, v6, v8
	v_mad_u64_u32 v[5:6], s[10:11], v5, 24, v[1:2]
	v_mov_b32_e32 v1, v5
	global_load_dwordx2 v[5:6], v[0:1], off glc
	s_waitcnt vmcnt(0)
	global_atomic_cmpswap_x2 v[0:1], v4, v[5:8], s[2:3] offset:24 glc
	s_waitcnt vmcnt(0)
	buffer_wbinvl1_vol
	v_cmp_eq_u64_e32 vcc, v[0:1], v[7:8]
	s_or_b64 s[8:9], vcc, s[8:9]
	s_andn2_b64 exec, exec, s[8:9]
	s_cbranch_execnz .LBB4_390
; %bb.391:
	s_or_b64 exec, exec, s[8:9]
.LBB4_392:
	s_or_b64 exec, exec, s[6:7]
.LBB4_393:
	s_or_b64 exec, exec, s[4:5]
	v_mov_b32_e32 v5, 0
	global_load_dwordx2 v[10:11], v5, s[2:3] offset:40
	global_load_dwordx4 v[6:9], v5, s[2:3]
	v_readfirstlane_b32 s5, v1
	v_readfirstlane_b32 s4, v0
	s_mov_b64 s[6:7], exec
	s_waitcnt vmcnt(1)
	v_readfirstlane_b32 s8, v10
	v_readfirstlane_b32 s9, v11
	s_and_b64 s[8:9], s[8:9], s[4:5]
	s_mul_i32 s10, s9, 24
	s_mul_hi_u32 s11, s8, 24
	s_mul_i32 s12, s8, 24
	s_add_i32 s10, s11, s10
	v_mov_b32_e32 v0, s10
	s_waitcnt vmcnt(0)
	v_add_co_u32_e32 v10, vcc, s12, v6
	v_addc_co_u32_e32 v11, vcc, v7, v0, vcc
	s_and_saveexec_b64 s[10:11], s[0:1]
	s_cbranch_execz .LBB4_395
; %bb.394:
	v_mov_b32_e32 v13, s7
	v_mov_b32_e32 v12, s6
	;; [unrolled: 1-line block ×4, first 2 shown]
	global_store_dwordx4 v[10:11], v[12:15], off offset:8
.LBB4_395:
	s_or_b64 exec, exec, s[10:11]
	s_lshl_b64 s[6:7], s[8:9], 12
	v_mov_b32_e32 v0, s7
	v_add_co_u32_e32 v1, vcc, s6, v8
	v_addc_co_u32_e32 v0, vcc, v9, v0, vcc
	s_movk_i32 s6, 0xff1d
	v_and_or_b32 v2, v2, s6, 34
	s_mov_b32 s8, 0
	v_mov_b32_e32 v4, 0x7c
	v_readfirstlane_b32 s6, v1
	v_readfirstlane_b32 s7, v0
	s_mov_b32 s9, s8
	s_mov_b32 s10, s8
	;; [unrolled: 1-line block ×3, first 2 shown]
	s_nop 1
	global_store_dwordx4 v31, v[2:5], s[6:7]
	v_mov_b32_e32 v0, s8
	v_mov_b32_e32 v1, s9
	;; [unrolled: 1-line block ×4, first 2 shown]
	global_store_dwordx4 v31, v[0:3], s[6:7] offset:16
	global_store_dwordx4 v31, v[0:3], s[6:7] offset:32
	;; [unrolled: 1-line block ×3, first 2 shown]
	s_and_saveexec_b64 s[6:7], s[0:1]
	s_cbranch_execz .LBB4_403
; %bb.396:
	v_mov_b32_e32 v8, 0
	global_load_dwordx2 v[14:15], v8, s[2:3] offset:32 glc
	global_load_dwordx2 v[0:1], v8, s[2:3] offset:40
	v_mov_b32_e32 v12, s4
	v_mov_b32_e32 v13, s5
	s_waitcnt vmcnt(0)
	v_readfirstlane_b32 s8, v0
	v_readfirstlane_b32 s9, v1
	s_and_b64 s[8:9], s[8:9], s[4:5]
	s_mul_i32 s9, s9, 24
	s_mul_hi_u32 s10, s8, 24
	s_mul_i32 s8, s8, 24
	s_add_i32 s9, s10, s9
	v_mov_b32_e32 v0, s9
	v_add_co_u32_e32 v4, vcc, s8, v6
	v_addc_co_u32_e32 v5, vcc, v7, v0, vcc
	global_store_dwordx2 v[4:5], v[14:15], off
	s_waitcnt vmcnt(0)
	global_atomic_cmpswap_x2 v[2:3], v8, v[12:15], s[2:3] offset:32 glc
	s_waitcnt vmcnt(0)
	v_cmp_ne_u64_e32 vcc, v[2:3], v[14:15]
	s_and_saveexec_b64 s[8:9], vcc
	s_cbranch_execz .LBB4_399
; %bb.397:
	s_mov_b64 s[10:11], 0
.LBB4_398:                              ; =>This Inner Loop Header: Depth=1
	s_sleep 1
	global_store_dwordx2 v[4:5], v[2:3], off
	v_mov_b32_e32 v0, s4
	v_mov_b32_e32 v1, s5
	s_waitcnt vmcnt(0)
	global_atomic_cmpswap_x2 v[0:1], v8, v[0:3], s[2:3] offset:32 glc
	s_waitcnt vmcnt(0)
	v_cmp_eq_u64_e32 vcc, v[0:1], v[2:3]
	v_mov_b32_e32 v3, v1
	s_or_b64 s[10:11], vcc, s[10:11]
	v_mov_b32_e32 v2, v0
	s_andn2_b64 exec, exec, s[10:11]
	s_cbranch_execnz .LBB4_398
.LBB4_399:
	s_or_b64 exec, exec, s[8:9]
	v_mov_b32_e32 v3, 0
	global_load_dwordx2 v[0:1], v3, s[2:3] offset:16
	s_mov_b64 s[8:9], exec
	v_mbcnt_lo_u32_b32 v2, s8, 0
	v_mbcnt_hi_u32_b32 v2, s9, v2
	v_cmp_eq_u32_e32 vcc, 0, v2
	s_and_saveexec_b64 s[10:11], vcc
	s_cbranch_execz .LBB4_401
; %bb.400:
	s_bcnt1_i32_b64 s8, s[8:9]
	v_mov_b32_e32 v2, s8
	s_waitcnt vmcnt(0)
	global_atomic_add_x2 v[0:1], v[2:3], off offset:8
.LBB4_401:
	s_or_b64 exec, exec, s[10:11]
	s_waitcnt vmcnt(0)
	global_load_dwordx2 v[2:3], v[0:1], off offset:16
	s_waitcnt vmcnt(0)
	v_cmp_eq_u64_e32 vcc, 0, v[2:3]
	s_cbranch_vccnz .LBB4_403
; %bb.402:
	global_load_dword v0, v[0:1], off offset:24
	v_mov_b32_e32 v1, 0
	s_waitcnt vmcnt(0)
	v_readfirstlane_b32 s8, v0
	s_and_b32 m0, s8, 0xffffff
	global_store_dwordx2 v[2:3], v[0:1], off
	s_sendmsg sendmsg(MSG_INTERRUPT)
.LBB4_403:
	s_or_b64 exec, exec, s[6:7]
	s_branch .LBB4_407
.LBB4_404:                              ;   in Loop: Header=BB4_407 Depth=1
	s_or_b64 exec, exec, s[6:7]
	v_readfirstlane_b32 s6, v0
	s_cmp_eq_u32 s6, 0
	s_cbranch_scc1 .LBB4_406
; %bb.405:                              ;   in Loop: Header=BB4_407 Depth=1
	s_sleep 1
	s_cbranch_execnz .LBB4_407
	s_branch .LBB4_409
.LBB4_406:
	s_branch .LBB4_409
.LBB4_407:                              ; =>This Inner Loop Header: Depth=1
	v_mov_b32_e32 v0, 1
	s_and_saveexec_b64 s[6:7], s[0:1]
	s_cbranch_execz .LBB4_404
; %bb.408:                              ;   in Loop: Header=BB4_407 Depth=1
	global_load_dword v0, v[10:11], off offset:20 glc
	s_waitcnt vmcnt(0)
	buffer_wbinvl1_vol
	v_and_b32_e32 v0, 1, v0
	s_branch .LBB4_404
.LBB4_409:
	s_and_saveexec_b64 s[6:7], s[0:1]
	s_cbranch_execz .LBB4_412
; %bb.410:
	v_mov_b32_e32 v6, 0
	global_load_dwordx2 v[0:1], v6, s[2:3] offset:40
	global_load_dwordx2 v[9:10], v6, s[2:3] offset:24 glc
	global_load_dwordx2 v[2:3], v6, s[2:3]
	s_waitcnt vmcnt(2)
	v_readfirstlane_b32 s8, v0
	v_readfirstlane_b32 s9, v1
	s_add_u32 s10, s8, 1
	s_addc_u32 s11, s9, 0
	s_add_u32 s0, s10, s4
	s_addc_u32 s1, s11, s5
	s_cmp_eq_u64 s[0:1], 0
	s_cselect_b32 s1, s11, s1
	s_cselect_b32 s0, s10, s0
	s_and_b64 s[4:5], s[0:1], s[8:9]
	s_mul_i32 s5, s5, 24
	s_mul_hi_u32 s8, s4, 24
	s_mul_i32 s4, s4, 24
	s_add_i32 s5, s8, s5
	v_mov_b32_e32 v0, s5
	s_waitcnt vmcnt(0)
	v_add_co_u32_e32 v4, vcc, s4, v2
	v_addc_co_u32_e32 v5, vcc, v3, v0, vcc
	v_mov_b32_e32 v7, s0
	global_store_dwordx2 v[4:5], v[9:10], off
	v_mov_b32_e32 v8, s1
	s_waitcnt vmcnt(0)
	global_atomic_cmpswap_x2 v[2:3], v6, v[7:10], s[2:3] offset:24 glc
	s_mov_b64 s[4:5], 0
	s_waitcnt vmcnt(0)
	v_cmp_ne_u64_e32 vcc, v[2:3], v[9:10]
	s_and_b64 exec, exec, vcc
	s_cbranch_execz .LBB4_412
.LBB4_411:                              ; =>This Inner Loop Header: Depth=1
	s_sleep 1
	global_store_dwordx2 v[4:5], v[2:3], off
	v_mov_b32_e32 v0, s0
	v_mov_b32_e32 v1, s1
	s_waitcnt vmcnt(0)
	global_atomic_cmpswap_x2 v[0:1], v6, v[0:3], s[2:3] offset:24 glc
	s_waitcnt vmcnt(0)
	v_cmp_eq_u64_e32 vcc, v[0:1], v[2:3]
	v_mov_b32_e32 v3, v1
	s_or_b64 s[4:5], vcc, s[4:5]
	v_mov_b32_e32 v2, v0
	s_andn2_b64 exec, exec, s[4:5]
	s_cbranch_execnz .LBB4_411
.LBB4_412:
	s_or_b64 exec, exec, s[6:7]
	s_trap 2
	; divergent unreachable
	s_endpgm
	.section	.rodata,"a",@progbits
	.p2align	6, 0x0
	.amdhsa_kernel _ZN9rocsparseL38csr2csr_compress_use_warp_start_deviceILj256ELj64ELj2EfEEvi21rocsparse_index_base_PKT2_PKiS1_PS2_PiPKjS2_
		.amdhsa_group_segment_fixed_size 0
		.amdhsa_private_segment_fixed_size 0
		.amdhsa_kernarg_size 320
		.amdhsa_user_sgpr_count 6
		.amdhsa_user_sgpr_private_segment_buffer 1
		.amdhsa_user_sgpr_dispatch_ptr 0
		.amdhsa_user_sgpr_queue_ptr 0
		.amdhsa_user_sgpr_kernarg_segment_ptr 1
		.amdhsa_user_sgpr_dispatch_id 0
		.amdhsa_user_sgpr_flat_scratch_init 0
		.amdhsa_user_sgpr_private_segment_size 0
		.amdhsa_uses_dynamic_stack 0
		.amdhsa_system_sgpr_private_segment_wavefront_offset 0
		.amdhsa_system_sgpr_workgroup_id_x 1
		.amdhsa_system_sgpr_workgroup_id_y 0
		.amdhsa_system_sgpr_workgroup_id_z 0
		.amdhsa_system_sgpr_workgroup_info 0
		.amdhsa_system_vgpr_workitem_id 0
		.amdhsa_next_free_vgpr 34
		.amdhsa_next_free_sgpr 28
		.amdhsa_reserve_vcc 1
		.amdhsa_reserve_flat_scratch 0
		.amdhsa_float_round_mode_32 0
		.amdhsa_float_round_mode_16_64 0
		.amdhsa_float_denorm_mode_32 3
		.amdhsa_float_denorm_mode_16_64 3
		.amdhsa_dx10_clamp 1
		.amdhsa_ieee_mode 1
		.amdhsa_fp16_overflow 0
		.amdhsa_exception_fp_ieee_invalid_op 0
		.amdhsa_exception_fp_denorm_src 0
		.amdhsa_exception_fp_ieee_div_zero 0
		.amdhsa_exception_fp_ieee_overflow 0
		.amdhsa_exception_fp_ieee_underflow 0
		.amdhsa_exception_fp_ieee_inexact 0
		.amdhsa_exception_int_div_zero 0
	.end_amdhsa_kernel
	.section	.text._ZN9rocsparseL38csr2csr_compress_use_warp_start_deviceILj256ELj64ELj2EfEEvi21rocsparse_index_base_PKT2_PKiS1_PS2_PiPKjS2_,"axG",@progbits,_ZN9rocsparseL38csr2csr_compress_use_warp_start_deviceILj256ELj64ELj2EfEEvi21rocsparse_index_base_PKT2_PKiS1_PS2_PiPKjS2_,comdat
.Lfunc_end4:
	.size	_ZN9rocsparseL38csr2csr_compress_use_warp_start_deviceILj256ELj64ELj2EfEEvi21rocsparse_index_base_PKT2_PKiS1_PS2_PiPKjS2_, .Lfunc_end4-_ZN9rocsparseL38csr2csr_compress_use_warp_start_deviceILj256ELj64ELj2EfEEvi21rocsparse_index_base_PKT2_PKiS1_PS2_PiPKjS2_
                                        ; -- End function
	.set _ZN9rocsparseL38csr2csr_compress_use_warp_start_deviceILj256ELj64ELj2EfEEvi21rocsparse_index_base_PKT2_PKiS1_PS2_PiPKjS2_.num_vgpr, 34
	.set _ZN9rocsparseL38csr2csr_compress_use_warp_start_deviceILj256ELj64ELj2EfEEvi21rocsparse_index_base_PKT2_PKiS1_PS2_PiPKjS2_.num_agpr, 0
	.set _ZN9rocsparseL38csr2csr_compress_use_warp_start_deviceILj256ELj64ELj2EfEEvi21rocsparse_index_base_PKT2_PKiS1_PS2_PiPKjS2_.numbered_sgpr, 28
	.set _ZN9rocsparseL38csr2csr_compress_use_warp_start_deviceILj256ELj64ELj2EfEEvi21rocsparse_index_base_PKT2_PKiS1_PS2_PiPKjS2_.num_named_barrier, 0
	.set _ZN9rocsparseL38csr2csr_compress_use_warp_start_deviceILj256ELj64ELj2EfEEvi21rocsparse_index_base_PKT2_PKiS1_PS2_PiPKjS2_.private_seg_size, 0
	.set _ZN9rocsparseL38csr2csr_compress_use_warp_start_deviceILj256ELj64ELj2EfEEvi21rocsparse_index_base_PKT2_PKiS1_PS2_PiPKjS2_.uses_vcc, 1
	.set _ZN9rocsparseL38csr2csr_compress_use_warp_start_deviceILj256ELj64ELj2EfEEvi21rocsparse_index_base_PKT2_PKiS1_PS2_PiPKjS2_.uses_flat_scratch, 0
	.set _ZN9rocsparseL38csr2csr_compress_use_warp_start_deviceILj256ELj64ELj2EfEEvi21rocsparse_index_base_PKT2_PKiS1_PS2_PiPKjS2_.has_dyn_sized_stack, 0
	.set _ZN9rocsparseL38csr2csr_compress_use_warp_start_deviceILj256ELj64ELj2EfEEvi21rocsparse_index_base_PKT2_PKiS1_PS2_PiPKjS2_.has_recursion, 0
	.set _ZN9rocsparseL38csr2csr_compress_use_warp_start_deviceILj256ELj64ELj2EfEEvi21rocsparse_index_base_PKT2_PKiS1_PS2_PiPKjS2_.has_indirect_call, 0
	.section	.AMDGPU.csdata,"",@progbits
; Kernel info:
; codeLenInByte = 13696
; TotalNumSgprs: 32
; NumVgprs: 34
; ScratchSize: 0
; MemoryBound: 0
; FloatMode: 240
; IeeeMode: 1
; LDSByteSize: 0 bytes/workgroup (compile time only)
; SGPRBlocks: 3
; VGPRBlocks: 8
; NumSGPRsForWavesPerEU: 32
; NumVGPRsForWavesPerEU: 34
; Occupancy: 7
; WaveLimiterHint : 1
; COMPUTE_PGM_RSRC2:SCRATCH_EN: 0
; COMPUTE_PGM_RSRC2:USER_SGPR: 6
; COMPUTE_PGM_RSRC2:TRAP_HANDLER: 0
; COMPUTE_PGM_RSRC2:TGID_X_EN: 1
; COMPUTE_PGM_RSRC2:TGID_Y_EN: 0
; COMPUTE_PGM_RSRC2:TGID_Z_EN: 0
; COMPUTE_PGM_RSRC2:TIDIG_COMP_CNT: 0
	.section	.text._ZN9rocsparseL39csr2csr_compress_fill_warp_start_deviceILj256ELj32ELj2EdEEviPKT2_PjS1_,"axG",@progbits,_ZN9rocsparseL39csr2csr_compress_fill_warp_start_deviceILj256ELj32ELj2EdEEviPKT2_PjS1_,comdat
	.globl	_ZN9rocsparseL39csr2csr_compress_fill_warp_start_deviceILj256ELj32ELj2EdEEviPKT2_PjS1_ ; -- Begin function _ZN9rocsparseL39csr2csr_compress_fill_warp_start_deviceILj256ELj32ELj2EdEEviPKT2_PjS1_
	.p2align	8
	.type	_ZN9rocsparseL39csr2csr_compress_fill_warp_start_deviceILj256ELj32ELj2EdEEviPKT2_PjS1_,@function
_ZN9rocsparseL39csr2csr_compress_fill_warp_start_deviceILj256ELj32ELj2EdEEviPKT2_PjS1_: ; @_ZN9rocsparseL39csr2csr_compress_fill_warp_start_deviceILj256ELj32ELj2EdEEviPKT2_PjS1_
; %bb.0:
	s_load_dwordx4 s[8:11], s[4:5], 0x8
	v_lshl_or_b32 v2, s6, 9, v0
	v_cmp_eq_u32_e32 vcc, 0, v2
	s_and_saveexec_b64 s[0:1], vcc
	s_cbranch_execz .LBB5_2
; %bb.1:
	v_mov_b32_e32 v1, 0
	s_waitcnt lgkmcnt(0)
	global_store_dword v1, v1, s[10:11]
.LBB5_2:
	s_or_b64 exec, exec, s[0:1]
	s_load_dword s19, s[4:5], 0x0
	s_load_dwordx2 s[12:13], s[4:5], 0x18
	v_lshrrev_b32_e32 v0, 5, v0
	v_lshl_or_b32 v0, s6, 4, v0
	s_mov_b64 s[6:7], 0
	s_waitcnt lgkmcnt(0)
	s_add_i32 s0, s19, -1
	v_cmp_gt_i32_e32 vcc, s19, v2
	s_lshr_b32 s18, s0, 5
	s_mov_b64 s[0:1], -1
	s_and_saveexec_b64 s[14:15], vcc
	s_cbranch_execnz .LBB5_6
; %bb.3:
	s_or_b64 exec, exec, s[14:15]
	s_and_saveexec_b64 s[14:15], s[0:1]
	s_cbranch_execnz .LBB5_9
.LBB5_4:
	s_or_b64 exec, exec, s[14:15]
	s_and_saveexec_b64 s[0:1], s[6:7]
	s_xor_b64 s[0:1], exec, s[0:1]
	s_cbranch_execnz .LBB5_14
.LBB5_5:
	s_endpgm
.LBB5_6:
	v_ashrrev_i32_e32 v3, 31, v2
	v_lshlrev_b64 v[3:4], 3, v[2:3]
	v_mov_b32_e32 v1, s9
	v_add_co_u32_e32 v3, vcc, s8, v3
	v_addc_co_u32_e32 v4, vcc, v1, v4, vcc
	global_load_dwordx2 v[3:4], v[3:4], off glc slc
	s_mov_b32 s0, 0
	s_mov_b32 s1, 0x38100000
	s_mov_b64 s[16:17], 0
	v_cmp_ge_u32_e64 s[2:3], s18, v0
	s_mov_b64 s[6:7], -1
	s_waitcnt vmcnt(0)
	v_cmp_gt_f64_e32 vcc, 0, v[3:4]
	v_xor_b32_e32 v1, 0x80000000, v4
	v_cndmask_b32_e32 v4, v4, v1, vcc
	v_cmp_lt_f64_e32 vcc, s[12:13], v[3:4]
	v_cmp_lt_f64_e64 s[0:1], s[0:1], v[3:4]
	s_and_b64 s[0:1], vcc, s[0:1]
	v_cndmask_b32_e64 v1, 0, 1, s[0:1]
	v_cmp_ne_u32_e32 vcc, 0, v1
	s_and_saveexec_b64 s[0:1], s[2:3]
	s_cbranch_execz .LBB5_8
; %bb.7:
	v_mov_b32_e32 v1, 0
	v_lshlrev_b64 v[3:4], 2, v[0:1]
	s_bcnt1_i32_b64 s2, vcc
	v_mov_b32_e32 v1, s11
	v_add_co_u32_e32 v3, vcc, s10, v3
	s_mov_b64 s[16:17], exec
	v_addc_co_u32_e32 v4, vcc, v1, v4, vcc
	v_mov_b32_e32 v1, s2
	s_xor_b64 s[6:7], exec, -1
	global_store_dword v[3:4], v1, off offset:4
.LBB5_8:
	s_or_b64 exec, exec, s[0:1]
	s_and_b64 s[6:7], s[6:7], exec
	s_orn2_b64 s[0:1], s[16:17], exec
	s_or_b64 exec, exec, s[14:15]
	s_and_saveexec_b64 s[14:15], s[0:1]
	s_cbranch_execz .LBB5_4
.LBB5_9:
	v_add_u32_e32 v1, 0x100, v2
	v_cmp_gt_i32_e32 vcc, s19, v1
	s_mov_b64 s[0:1], s[6:7]
	s_and_saveexec_b64 s[16:17], vcc
	s_cbranch_execz .LBB5_13
; %bb.10:
	v_ashrrev_i32_e32 v3, 31, v2
	v_lshlrev_b64 v[1:2], 3, v[2:3]
	v_mov_b32_e32 v3, s9
	v_add_co_u32_e32 v1, vcc, s8, v1
	v_addc_co_u32_e32 v2, vcc, v3, v2, vcc
	global_load_dwordx2 v[1:2], v[1:2], off offset:2048 glc slc
	s_mov_b32 s0, 0
	s_mov_b32 s1, 0x38100000
	v_add_u32_e32 v0, 8, v0
	v_cmp_ge_u32_e64 s[2:3], s18, v0
	s_mov_b64 s[8:9], -1
	s_waitcnt vmcnt(0)
	v_cmp_gt_f64_e32 vcc, 0, v[1:2]
	v_xor_b32_e32 v3, 0x80000000, v2
	v_cndmask_b32_e32 v2, v2, v3, vcc
	v_cmp_lt_f64_e32 vcc, s[12:13], v[1:2]
	v_cmp_lt_f64_e64 s[0:1], s[0:1], v[1:2]
	s_and_b64 s[0:1], vcc, s[0:1]
	v_cndmask_b32_e64 v1, 0, 1, s[0:1]
	v_cmp_ne_u32_e32 vcc, 0, v1
	s_and_saveexec_b64 s[0:1], s[2:3]
	s_xor_b64 s[0:1], exec, s[0:1]
	s_cbranch_execz .LBB5_12
; %bb.11:
	v_mov_b32_e32 v1, 0
	v_lshlrev_b64 v[0:1], 2, v[0:1]
	s_bcnt1_i32_b64 s2, vcc
	v_mov_b32_e32 v2, s11
	v_add_co_u32_e32 v0, vcc, s10, v0
	v_addc_co_u32_e32 v1, vcc, v2, v1, vcc
	v_mov_b32_e32 v2, s2
	global_store_dword v[0:1], v2, off offset:4
	s_xor_b64 s[8:9], exec, -1
.LBB5_12:
	s_or_b64 exec, exec, s[0:1]
	s_andn2_b64 s[0:1], s[6:7], exec
	s_and_b64 s[2:3], s[8:9], exec
	s_or_b64 s[0:1], s[0:1], s[2:3]
.LBB5_13:
	s_or_b64 exec, exec, s[16:17]
	s_andn2_b64 s[2:3], s[6:7], exec
	s_and_b64 s[0:1], s[0:1], exec
	s_or_b64 s[6:7], s[2:3], s[0:1]
	s_or_b64 exec, exec, s[14:15]
	s_and_saveexec_b64 s[0:1], s[6:7]
	s_xor_b64 s[0:1], exec, s[0:1]
	s_cbranch_execz .LBB5_5
.LBB5_14:
	s_load_dwordx2 s[2:3], s[4:5], 0x70
	v_mbcnt_lo_u32_b32 v0, -1, 0
	v_mbcnt_hi_u32_b32 v32, -1, v0
	v_readfirstlane_b32 s0, v32
	v_mov_b32_e32 v5, 0
	v_mov_b32_e32 v6, 0
	v_cmp_eq_u32_e64 s[0:1], s0, v32
	s_and_saveexec_b64 s[4:5], s[0:1]
	s_cbranch_execz .LBB5_20
; %bb.15:
	v_mov_b32_e32 v0, 0
	s_waitcnt lgkmcnt(0)
	global_load_dwordx2 v[3:4], v0, s[2:3] offset:24 glc
	s_waitcnt vmcnt(0)
	buffer_wbinvl1_vol
	global_load_dwordx2 v[1:2], v0, s[2:3] offset:40
	global_load_dwordx2 v[5:6], v0, s[2:3]
	s_waitcnt vmcnt(1)
	v_and_b32_e32 v1, v1, v3
	v_and_b32_e32 v2, v2, v4
	v_mul_lo_u32 v2, v2, 24
	v_mul_hi_u32 v7, v1, 24
	v_mul_lo_u32 v1, v1, 24
	v_add_u32_e32 v2, v7, v2
	s_waitcnt vmcnt(0)
	v_add_co_u32_e32 v1, vcc, v5, v1
	v_addc_co_u32_e32 v2, vcc, v6, v2, vcc
	global_load_dwordx2 v[1:2], v[1:2], off glc
	s_waitcnt vmcnt(0)
	global_atomic_cmpswap_x2 v[5:6], v0, v[1:4], s[2:3] offset:24 glc
	s_waitcnt vmcnt(0)
	buffer_wbinvl1_vol
	v_cmp_ne_u64_e32 vcc, v[5:6], v[3:4]
	s_and_saveexec_b64 s[6:7], vcc
	s_cbranch_execz .LBB5_19
; %bb.16:
	s_mov_b64 s[8:9], 0
.LBB5_17:                               ; =>This Inner Loop Header: Depth=1
	s_sleep 1
	global_load_dwordx2 v[1:2], v0, s[2:3] offset:40
	global_load_dwordx2 v[7:8], v0, s[2:3]
	v_mov_b32_e32 v3, v5
	v_mov_b32_e32 v4, v6
	s_waitcnt vmcnt(1)
	v_and_b32_e32 v1, v1, v3
	s_waitcnt vmcnt(0)
	v_mad_u64_u32 v[5:6], s[10:11], v1, 24, v[7:8]
	v_and_b32_e32 v2, v2, v4
	v_mov_b32_e32 v1, v6
	v_mad_u64_u32 v[1:2], s[10:11], v2, 24, v[1:2]
	v_mov_b32_e32 v6, v1
	global_load_dwordx2 v[1:2], v[5:6], off glc
	s_waitcnt vmcnt(0)
	global_atomic_cmpswap_x2 v[5:6], v0, v[1:4], s[2:3] offset:24 glc
	s_waitcnt vmcnt(0)
	buffer_wbinvl1_vol
	v_cmp_eq_u64_e32 vcc, v[5:6], v[3:4]
	s_or_b64 s[8:9], vcc, s[8:9]
	s_andn2_b64 exec, exec, s[8:9]
	s_cbranch_execnz .LBB5_17
; %bb.18:
	s_or_b64 exec, exec, s[8:9]
.LBB5_19:
	s_or_b64 exec, exec, s[6:7]
.LBB5_20:
	s_or_b64 exec, exec, s[4:5]
	v_mov_b32_e32 v4, 0
	s_waitcnt lgkmcnt(0)
	global_load_dwordx2 v[7:8], v4, s[2:3] offset:40
	global_load_dwordx4 v[0:3], v4, s[2:3]
	v_readfirstlane_b32 s5, v6
	v_readfirstlane_b32 s4, v5
	s_mov_b64 s[6:7], exec
	s_waitcnt vmcnt(1)
	v_readfirstlane_b32 s8, v7
	v_readfirstlane_b32 s9, v8
	s_and_b64 s[8:9], s[8:9], s[4:5]
	s_mul_i32 s10, s9, 24
	s_mul_hi_u32 s11, s8, 24
	s_mul_i32 s12, s8, 24
	s_add_i32 s10, s11, s10
	v_mov_b32_e32 v5, s10
	s_waitcnt vmcnt(0)
	v_add_co_u32_e32 v7, vcc, s12, v0
	v_addc_co_u32_e32 v8, vcc, v1, v5, vcc
	s_and_saveexec_b64 s[10:11], s[0:1]
	s_cbranch_execz .LBB5_22
; %bb.21:
	v_mov_b32_e32 v10, s7
	v_mov_b32_e32 v9, s6
	;; [unrolled: 1-line block ×4, first 2 shown]
	global_store_dwordx4 v[7:8], v[9:12], off offset:8
.LBB5_22:
	s_or_b64 exec, exec, s[10:11]
	s_lshl_b64 s[6:7], s[8:9], 12
	v_mov_b32_e32 v5, s7
	v_add_co_u32_e32 v2, vcc, s6, v2
	v_addc_co_u32_e32 v11, vcc, v3, v5, vcc
	v_lshlrev_b32_e32 v31, 6, v32
	s_mov_b32 s8, 0
	v_mov_b32_e32 v3, 33
	v_mov_b32_e32 v5, v4
	;; [unrolled: 1-line block ×3, first 2 shown]
	v_readfirstlane_b32 s6, v2
	v_readfirstlane_b32 s7, v11
	v_add_co_u32_e32 v9, vcc, v2, v31
	s_mov_b32 s9, s8
	s_mov_b32 s10, s8
	;; [unrolled: 1-line block ×3, first 2 shown]
	s_nop 0
	global_store_dwordx4 v31, v[3:6], s[6:7]
	v_mov_b32_e32 v2, s8
	v_addc_co_u32_e32 v10, vcc, 0, v11, vcc
	v_mov_b32_e32 v3, s9
	v_mov_b32_e32 v4, s10
	;; [unrolled: 1-line block ×3, first 2 shown]
	global_store_dwordx4 v31, v[2:5], s[6:7] offset:16
	global_store_dwordx4 v31, v[2:5], s[6:7] offset:32
	;; [unrolled: 1-line block ×3, first 2 shown]
	s_and_saveexec_b64 s[6:7], s[0:1]
	s_cbranch_execz .LBB5_30
; %bb.23:
	v_mov_b32_e32 v6, 0
	global_load_dwordx2 v[13:14], v6, s[2:3] offset:32 glc
	global_load_dwordx2 v[2:3], v6, s[2:3] offset:40
	v_mov_b32_e32 v11, s4
	v_mov_b32_e32 v12, s5
	s_waitcnt vmcnt(0)
	v_and_b32_e32 v2, s4, v2
	v_and_b32_e32 v3, s5, v3
	v_mul_lo_u32 v3, v3, 24
	v_mul_hi_u32 v4, v2, 24
	v_mul_lo_u32 v2, v2, 24
	v_add_u32_e32 v3, v4, v3
	v_add_co_u32_e32 v4, vcc, v0, v2
	v_addc_co_u32_e32 v5, vcc, v1, v3, vcc
	global_store_dwordx2 v[4:5], v[13:14], off
	s_waitcnt vmcnt(0)
	global_atomic_cmpswap_x2 v[2:3], v6, v[11:14], s[2:3] offset:32 glc
	s_waitcnt vmcnt(0)
	v_cmp_ne_u64_e32 vcc, v[2:3], v[13:14]
	s_and_saveexec_b64 s[8:9], vcc
	s_cbranch_execz .LBB5_26
; %bb.24:
	s_mov_b64 s[10:11], 0
.LBB5_25:                               ; =>This Inner Loop Header: Depth=1
	s_sleep 1
	global_store_dwordx2 v[4:5], v[2:3], off
	v_mov_b32_e32 v0, s4
	v_mov_b32_e32 v1, s5
	s_waitcnt vmcnt(0)
	global_atomic_cmpswap_x2 v[0:1], v6, v[0:3], s[2:3] offset:32 glc
	s_waitcnt vmcnt(0)
	v_cmp_eq_u64_e32 vcc, v[0:1], v[2:3]
	v_mov_b32_e32 v3, v1
	s_or_b64 s[10:11], vcc, s[10:11]
	v_mov_b32_e32 v2, v0
	s_andn2_b64 exec, exec, s[10:11]
	s_cbranch_execnz .LBB5_25
.LBB5_26:
	s_or_b64 exec, exec, s[8:9]
	v_mov_b32_e32 v3, 0
	global_load_dwordx2 v[0:1], v3, s[2:3] offset:16
	s_mov_b64 s[8:9], exec
	v_mbcnt_lo_u32_b32 v2, s8, 0
	v_mbcnt_hi_u32_b32 v2, s9, v2
	v_cmp_eq_u32_e32 vcc, 0, v2
	s_and_saveexec_b64 s[10:11], vcc
	s_cbranch_execz .LBB5_28
; %bb.27:
	s_bcnt1_i32_b64 s8, s[8:9]
	v_mov_b32_e32 v2, s8
	s_waitcnt vmcnt(0)
	global_atomic_add_x2 v[0:1], v[2:3], off offset:8
.LBB5_28:
	s_or_b64 exec, exec, s[10:11]
	s_waitcnt vmcnt(0)
	global_load_dwordx2 v[2:3], v[0:1], off offset:16
	s_waitcnt vmcnt(0)
	v_cmp_eq_u64_e32 vcc, 0, v[2:3]
	s_cbranch_vccnz .LBB5_30
; %bb.29:
	global_load_dword v0, v[0:1], off offset:24
	v_mov_b32_e32 v1, 0
	s_waitcnt vmcnt(0)
	v_readfirstlane_b32 s8, v0
	s_and_b32 m0, s8, 0xffffff
	global_store_dwordx2 v[2:3], v[0:1], off
	s_sendmsg sendmsg(MSG_INTERRUPT)
.LBB5_30:
	s_or_b64 exec, exec, s[6:7]
	s_branch .LBB5_34
.LBB5_31:                               ;   in Loop: Header=BB5_34 Depth=1
	s_or_b64 exec, exec, s[6:7]
	v_readfirstlane_b32 s6, v0
	s_cmp_eq_u32 s6, 0
	s_cbranch_scc1 .LBB5_33
; %bb.32:                               ;   in Loop: Header=BB5_34 Depth=1
	s_sleep 1
	s_cbranch_execnz .LBB5_34
	s_branch .LBB5_36
.LBB5_33:
	s_branch .LBB5_36
.LBB5_34:                               ; =>This Inner Loop Header: Depth=1
	v_mov_b32_e32 v0, 1
	s_and_saveexec_b64 s[6:7], s[0:1]
	s_cbranch_execz .LBB5_31
; %bb.35:                               ;   in Loop: Header=BB5_34 Depth=1
	global_load_dword v0, v[7:8], off offset:20 glc
	s_waitcnt vmcnt(0)
	buffer_wbinvl1_vol
	v_and_b32_e32 v0, 1, v0
	s_branch .LBB5_31
.LBB5_36:
	global_load_dwordx2 v[0:1], v[9:10], off
	s_and_saveexec_b64 s[6:7], s[0:1]
	s_cbranch_execz .LBB5_39
; %bb.37:
	v_mov_b32_e32 v8, 0
	global_load_dwordx2 v[2:3], v8, s[2:3] offset:40
	global_load_dwordx2 v[11:12], v8, s[2:3] offset:24 glc
	global_load_dwordx2 v[4:5], v8, s[2:3]
	s_waitcnt vmcnt(2)
	v_readfirstlane_b32 s8, v2
	v_readfirstlane_b32 s9, v3
	s_add_u32 s10, s8, 1
	s_addc_u32 s11, s9, 0
	s_add_u32 s0, s10, s4
	s_addc_u32 s1, s11, s5
	s_cmp_eq_u64 s[0:1], 0
	s_cselect_b32 s1, s11, s1
	s_cselect_b32 s0, s10, s0
	s_and_b64 s[4:5], s[0:1], s[8:9]
	s_mul_i32 s5, s5, 24
	s_mul_hi_u32 s8, s4, 24
	s_mul_i32 s4, s4, 24
	s_add_i32 s5, s8, s5
	v_mov_b32_e32 v2, s5
	s_waitcnt vmcnt(0)
	v_add_co_u32_e32 v6, vcc, s4, v4
	v_addc_co_u32_e32 v7, vcc, v5, v2, vcc
	v_mov_b32_e32 v9, s0
	global_store_dwordx2 v[6:7], v[11:12], off
	v_mov_b32_e32 v10, s1
	s_waitcnt vmcnt(0)
	global_atomic_cmpswap_x2 v[4:5], v8, v[9:12], s[2:3] offset:24 glc
	s_mov_b64 s[4:5], 0
	s_waitcnt vmcnt(0)
	v_cmp_ne_u64_e32 vcc, v[4:5], v[11:12]
	s_and_b64 exec, exec, vcc
	s_cbranch_execz .LBB5_39
.LBB5_38:                               ; =>This Inner Loop Header: Depth=1
	s_sleep 1
	global_store_dwordx2 v[6:7], v[4:5], off
	v_mov_b32_e32 v2, s0
	v_mov_b32_e32 v3, s1
	s_waitcnt vmcnt(0)
	global_atomic_cmpswap_x2 v[2:3], v8, v[2:5], s[2:3] offset:24 glc
	s_waitcnt vmcnt(0)
	v_cmp_eq_u64_e32 vcc, v[2:3], v[4:5]
	v_mov_b32_e32 v5, v3
	s_or_b64 s[4:5], vcc, s[4:5]
	v_mov_b32_e32 v4, v2
	s_andn2_b64 exec, exec, s[4:5]
	s_cbranch_execnz .LBB5_38
.LBB5_39:
	s_or_b64 exec, exec, s[6:7]
	s_getpc_b64 s[4:5]
	s_add_u32 s4, s4, .str@rel32@lo+4
	s_addc_u32 s5, s5, .str@rel32@hi+12
	s_cmp_lg_u64 s[4:5], 0
	s_cselect_b64 s[0:1], -1, 0
	s_cmp_eq_u64 s[4:5], 0
	s_mov_b64 s[4:5], 0
	s_cbranch_scc1 .LBB5_43
; %bb.40:
	v_mov_b32_e32 v2, 0
	s_getpc_b64 s[4:5]
	s_add_u32 s4, s4, .str@rel32@lo+3
	s_addc_u32 s5, s5, .str@rel32@hi+11
.LBB5_41:                               ; =>This Inner Loop Header: Depth=1
	global_load_ubyte v3, v2, s[4:5] offset:1
	s_add_u32 s6, s4, 1
	s_addc_u32 s7, s5, 0
	s_mov_b64 s[4:5], s[6:7]
	s_waitcnt vmcnt(0)
	v_cmp_ne_u32_e32 vcc, 0, v3
	s_cbranch_vccnz .LBB5_41
; %bb.42:
	s_getpc_b64 s[4:5]
	s_add_u32 s4, s4, .str@rel32@lo+4
	s_addc_u32 s5, s5, .str@rel32@hi+12
	s_sub_u32 s4, s6, s4
	s_subb_u32 s5, s7, s5
	s_add_u32 s4, s4, 1
	s_addc_u32 s5, s5, 0
.LBB5_43:
	s_and_b64 vcc, exec, s[0:1]
	s_cbranch_vccz .LBB5_128
; %bb.44:
	s_waitcnt vmcnt(0)
	v_and_b32_e32 v33, 2, v0
	v_mov_b32_e32 v28, 0
	v_and_b32_e32 v4, -3, v0
	v_mov_b32_e32 v5, v1
	v_mov_b32_e32 v10, 2
	;; [unrolled: 1-line block ×3, first 2 shown]
	s_getpc_b64 s[6:7]
	s_add_u32 s6, s6, .str@rel32@lo+4
	s_addc_u32 s7, s7, .str@rel32@hi+12
	s_branch .LBB5_46
.LBB5_45:                               ;   in Loop: Header=BB5_46 Depth=1
	s_or_b64 exec, exec, s[12:13]
	s_sub_u32 s4, s4, s8
	s_subb_u32 s5, s5, s9
	s_add_u32 s6, s6, s8
	s_addc_u32 s7, s7, s9
	s_cmp_lg_u64 s[4:5], 0
	s_cbranch_scc0 .LBB5_129
.LBB5_46:                               ; =>This Loop Header: Depth=1
                                        ;     Child Loop BB5_49 Depth 2
                                        ;     Child Loop BB5_57 Depth 2
	;; [unrolled: 1-line block ×11, first 2 shown]
	v_cmp_lt_u64_e64 s[0:1], s[4:5], 56
	v_cmp_gt_u64_e64 s[10:11], s[4:5], 7
	s_and_b64 s[0:1], s[0:1], exec
	s_cselect_b32 s9, s5, 0
	s_cselect_b32 s8, s4, 56
	s_add_u32 s0, s6, 8
	s_addc_u32 s1, s7, 0
	s_and_b64 vcc, exec, s[10:11]
	s_cbranch_vccnz .LBB5_50
; %bb.47:                               ;   in Loop: Header=BB5_46 Depth=1
	s_cmp_eq_u64 s[4:5], 0
	s_cbranch_scc1 .LBB5_51
; %bb.48:                               ;   in Loop: Header=BB5_46 Depth=1
	v_mov_b32_e32 v6, 0
	s_lshl_b64 s[0:1], s[8:9], 3
	s_mov_b64 s[10:11], 0
	v_mov_b32_e32 v7, 0
	s_mov_b64 s[12:13], s[6:7]
.LBB5_49:                               ;   Parent Loop BB5_46 Depth=1
                                        ; =>  This Inner Loop Header: Depth=2
	global_load_ubyte v2, v28, s[12:13]
	s_waitcnt vmcnt(0)
	v_and_b32_e32 v27, 0xffff, v2
	v_lshlrev_b64 v[2:3], s10, v[27:28]
	s_add_u32 s10, s10, 8
	s_addc_u32 s11, s11, 0
	s_add_u32 s12, s12, 1
	s_addc_u32 s13, s13, 0
	v_or_b32_e32 v6, v2, v6
	s_cmp_lg_u32 s0, s10
	v_or_b32_e32 v7, v3, v7
	s_cbranch_scc1 .LBB5_49
	s_branch .LBB5_52
.LBB5_50:                               ;   in Loop: Header=BB5_46 Depth=1
	s_mov_b32 s14, 0
	s_branch .LBB5_53
.LBB5_51:                               ;   in Loop: Header=BB5_46 Depth=1
	v_mov_b32_e32 v6, 0
	v_mov_b32_e32 v7, 0
.LBB5_52:                               ;   in Loop: Header=BB5_46 Depth=1
	s_mov_b64 s[0:1], s[6:7]
	s_mov_b32 s14, 0
	s_cbranch_execnz .LBB5_54
.LBB5_53:                               ;   in Loop: Header=BB5_46 Depth=1
	global_load_dwordx2 v[6:7], v28, s[6:7]
	s_add_i32 s14, s8, -8
.LBB5_54:                               ;   in Loop: Header=BB5_46 Depth=1
	s_add_u32 s10, s0, 8
	s_addc_u32 s11, s1, 0
	s_cmp_gt_u32 s14, 7
	s_cbranch_scc1 .LBB5_58
; %bb.55:                               ;   in Loop: Header=BB5_46 Depth=1
	s_cmp_eq_u32 s14, 0
	s_cbranch_scc1 .LBB5_59
; %bb.56:                               ;   in Loop: Header=BB5_46 Depth=1
	v_mov_b32_e32 v12, 0
	s_mov_b64 s[10:11], 0
	v_mov_b32_e32 v13, 0
	s_mov_b64 s[12:13], 0
.LBB5_57:                               ;   Parent Loop BB5_46 Depth=1
                                        ; =>  This Inner Loop Header: Depth=2
	s_add_u32 s16, s0, s12
	s_addc_u32 s17, s1, s13
	global_load_ubyte v2, v28, s[16:17]
	s_add_u32 s12, s12, 1
	s_addc_u32 s13, s13, 0
	s_waitcnt vmcnt(0)
	v_and_b32_e32 v27, 0xffff, v2
	v_lshlrev_b64 v[2:3], s10, v[27:28]
	s_add_u32 s10, s10, 8
	s_addc_u32 s11, s11, 0
	v_or_b32_e32 v12, v2, v12
	s_cmp_lg_u32 s14, s12
	v_or_b32_e32 v13, v3, v13
	s_cbranch_scc1 .LBB5_57
	s_branch .LBB5_60
.LBB5_58:                               ;   in Loop: Header=BB5_46 Depth=1
                                        ; implicit-def: $vgpr12_vgpr13
	s_mov_b32 s15, 0
	s_branch .LBB5_61
.LBB5_59:                               ;   in Loop: Header=BB5_46 Depth=1
	v_mov_b32_e32 v12, 0
	v_mov_b32_e32 v13, 0
.LBB5_60:                               ;   in Loop: Header=BB5_46 Depth=1
	s_mov_b64 s[10:11], s[0:1]
	s_mov_b32 s15, 0
	s_cbranch_execnz .LBB5_62
.LBB5_61:                               ;   in Loop: Header=BB5_46 Depth=1
	global_load_dwordx2 v[12:13], v28, s[0:1]
	s_add_i32 s15, s14, -8
.LBB5_62:                               ;   in Loop: Header=BB5_46 Depth=1
	s_add_u32 s0, s10, 8
	s_addc_u32 s1, s11, 0
	s_cmp_gt_u32 s15, 7
	s_cbranch_scc1 .LBB5_66
; %bb.63:                               ;   in Loop: Header=BB5_46 Depth=1
	s_cmp_eq_u32 s15, 0
	s_cbranch_scc1 .LBB5_67
; %bb.64:                               ;   in Loop: Header=BB5_46 Depth=1
	v_mov_b32_e32 v14, 0
	s_mov_b64 s[0:1], 0
	v_mov_b32_e32 v15, 0
	s_mov_b64 s[12:13], 0
.LBB5_65:                               ;   Parent Loop BB5_46 Depth=1
                                        ; =>  This Inner Loop Header: Depth=2
	s_add_u32 s16, s10, s12
	s_addc_u32 s17, s11, s13
	global_load_ubyte v2, v28, s[16:17]
	s_add_u32 s12, s12, 1
	s_addc_u32 s13, s13, 0
	s_waitcnt vmcnt(0)
	v_and_b32_e32 v27, 0xffff, v2
	v_lshlrev_b64 v[2:3], s0, v[27:28]
	s_add_u32 s0, s0, 8
	s_addc_u32 s1, s1, 0
	v_or_b32_e32 v14, v2, v14
	s_cmp_lg_u32 s15, s12
	v_or_b32_e32 v15, v3, v15
	s_cbranch_scc1 .LBB5_65
	s_branch .LBB5_68
.LBB5_66:                               ;   in Loop: Header=BB5_46 Depth=1
	s_mov_b32 s14, 0
	s_branch .LBB5_69
.LBB5_67:                               ;   in Loop: Header=BB5_46 Depth=1
	v_mov_b32_e32 v14, 0
	v_mov_b32_e32 v15, 0
.LBB5_68:                               ;   in Loop: Header=BB5_46 Depth=1
	s_mov_b64 s[0:1], s[10:11]
	s_mov_b32 s14, 0
	s_cbranch_execnz .LBB5_70
.LBB5_69:                               ;   in Loop: Header=BB5_46 Depth=1
	global_load_dwordx2 v[14:15], v28, s[10:11]
	s_add_i32 s14, s15, -8
.LBB5_70:                               ;   in Loop: Header=BB5_46 Depth=1
	s_add_u32 s10, s0, 8
	s_addc_u32 s11, s1, 0
	s_cmp_gt_u32 s14, 7
	s_cbranch_scc1 .LBB5_74
; %bb.71:                               ;   in Loop: Header=BB5_46 Depth=1
	s_cmp_eq_u32 s14, 0
	s_cbranch_scc1 .LBB5_75
; %bb.72:                               ;   in Loop: Header=BB5_46 Depth=1
	v_mov_b32_e32 v16, 0
	s_mov_b64 s[10:11], 0
	v_mov_b32_e32 v17, 0
	s_mov_b64 s[12:13], 0
.LBB5_73:                               ;   Parent Loop BB5_46 Depth=1
                                        ; =>  This Inner Loop Header: Depth=2
	s_add_u32 s16, s0, s12
	s_addc_u32 s17, s1, s13
	global_load_ubyte v2, v28, s[16:17]
	s_add_u32 s12, s12, 1
	s_addc_u32 s13, s13, 0
	s_waitcnt vmcnt(0)
	v_and_b32_e32 v27, 0xffff, v2
	v_lshlrev_b64 v[2:3], s10, v[27:28]
	s_add_u32 s10, s10, 8
	s_addc_u32 s11, s11, 0
	v_or_b32_e32 v16, v2, v16
	s_cmp_lg_u32 s14, s12
	v_or_b32_e32 v17, v3, v17
	s_cbranch_scc1 .LBB5_73
	s_branch .LBB5_76
.LBB5_74:                               ;   in Loop: Header=BB5_46 Depth=1
                                        ; implicit-def: $vgpr16_vgpr17
	s_mov_b32 s15, 0
	s_branch .LBB5_77
.LBB5_75:                               ;   in Loop: Header=BB5_46 Depth=1
	v_mov_b32_e32 v16, 0
	v_mov_b32_e32 v17, 0
.LBB5_76:                               ;   in Loop: Header=BB5_46 Depth=1
	s_mov_b64 s[10:11], s[0:1]
	s_mov_b32 s15, 0
	s_cbranch_execnz .LBB5_78
.LBB5_77:                               ;   in Loop: Header=BB5_46 Depth=1
	global_load_dwordx2 v[16:17], v28, s[0:1]
	s_add_i32 s15, s14, -8
.LBB5_78:                               ;   in Loop: Header=BB5_46 Depth=1
	s_add_u32 s0, s10, 8
	s_addc_u32 s1, s11, 0
	s_cmp_gt_u32 s15, 7
	s_cbranch_scc1 .LBB5_82
; %bb.79:                               ;   in Loop: Header=BB5_46 Depth=1
	s_cmp_eq_u32 s15, 0
	s_cbranch_scc1 .LBB5_83
; %bb.80:                               ;   in Loop: Header=BB5_46 Depth=1
	v_mov_b32_e32 v18, 0
	s_mov_b64 s[0:1], 0
	v_mov_b32_e32 v19, 0
	s_mov_b64 s[12:13], 0
.LBB5_81:                               ;   Parent Loop BB5_46 Depth=1
                                        ; =>  This Inner Loop Header: Depth=2
	s_add_u32 s16, s10, s12
	s_addc_u32 s17, s11, s13
	global_load_ubyte v2, v28, s[16:17]
	s_add_u32 s12, s12, 1
	s_addc_u32 s13, s13, 0
	s_waitcnt vmcnt(0)
	v_and_b32_e32 v27, 0xffff, v2
	v_lshlrev_b64 v[2:3], s0, v[27:28]
	s_add_u32 s0, s0, 8
	s_addc_u32 s1, s1, 0
	v_or_b32_e32 v18, v2, v18
	s_cmp_lg_u32 s15, s12
	v_or_b32_e32 v19, v3, v19
	s_cbranch_scc1 .LBB5_81
	s_branch .LBB5_84
.LBB5_82:                               ;   in Loop: Header=BB5_46 Depth=1
	s_mov_b32 s14, 0
	s_branch .LBB5_85
.LBB5_83:                               ;   in Loop: Header=BB5_46 Depth=1
	v_mov_b32_e32 v18, 0
	v_mov_b32_e32 v19, 0
.LBB5_84:                               ;   in Loop: Header=BB5_46 Depth=1
	s_mov_b64 s[0:1], s[10:11]
	s_mov_b32 s14, 0
	s_cbranch_execnz .LBB5_86
.LBB5_85:                               ;   in Loop: Header=BB5_46 Depth=1
	global_load_dwordx2 v[18:19], v28, s[10:11]
	s_add_i32 s14, s15, -8
.LBB5_86:                               ;   in Loop: Header=BB5_46 Depth=1
	s_add_u32 s10, s0, 8
	s_addc_u32 s11, s1, 0
	s_cmp_gt_u32 s14, 7
	s_cbranch_scc1 .LBB5_90
; %bb.87:                               ;   in Loop: Header=BB5_46 Depth=1
	s_cmp_eq_u32 s14, 0
	s_cbranch_scc1 .LBB5_91
; %bb.88:                               ;   in Loop: Header=BB5_46 Depth=1
	v_mov_b32_e32 v20, 0
	s_mov_b64 s[10:11], 0
	v_mov_b32_e32 v21, 0
	s_mov_b64 s[12:13], 0
.LBB5_89:                               ;   Parent Loop BB5_46 Depth=1
                                        ; =>  This Inner Loop Header: Depth=2
	s_add_u32 s16, s0, s12
	s_addc_u32 s17, s1, s13
	global_load_ubyte v2, v28, s[16:17]
	s_add_u32 s12, s12, 1
	s_addc_u32 s13, s13, 0
	s_waitcnt vmcnt(0)
	v_and_b32_e32 v27, 0xffff, v2
	v_lshlrev_b64 v[2:3], s10, v[27:28]
	s_add_u32 s10, s10, 8
	s_addc_u32 s11, s11, 0
	v_or_b32_e32 v20, v2, v20
	s_cmp_lg_u32 s14, s12
	v_or_b32_e32 v21, v3, v21
	s_cbranch_scc1 .LBB5_89
	s_branch .LBB5_92
.LBB5_90:                               ;   in Loop: Header=BB5_46 Depth=1
                                        ; implicit-def: $vgpr20_vgpr21
	s_mov_b32 s15, 0
	s_branch .LBB5_93
.LBB5_91:                               ;   in Loop: Header=BB5_46 Depth=1
	v_mov_b32_e32 v20, 0
	v_mov_b32_e32 v21, 0
.LBB5_92:                               ;   in Loop: Header=BB5_46 Depth=1
	s_mov_b64 s[10:11], s[0:1]
	s_mov_b32 s15, 0
	s_cbranch_execnz .LBB5_94
.LBB5_93:                               ;   in Loop: Header=BB5_46 Depth=1
	global_load_dwordx2 v[20:21], v28, s[0:1]
	s_add_i32 s15, s14, -8
.LBB5_94:                               ;   in Loop: Header=BB5_46 Depth=1
	s_cmp_gt_u32 s15, 7
	s_cbranch_scc1 .LBB5_98
; %bb.95:                               ;   in Loop: Header=BB5_46 Depth=1
	s_cmp_eq_u32 s15, 0
	s_cbranch_scc1 .LBB5_99
; %bb.96:                               ;   in Loop: Header=BB5_46 Depth=1
	v_mov_b32_e32 v22, 0
	s_mov_b64 s[0:1], 0
	v_mov_b32_e32 v23, 0
	s_mov_b64 s[12:13], s[10:11]
.LBB5_97:                               ;   Parent Loop BB5_46 Depth=1
                                        ; =>  This Inner Loop Header: Depth=2
	global_load_ubyte v2, v28, s[12:13]
	s_add_i32 s15, s15, -1
	s_waitcnt vmcnt(0)
	v_and_b32_e32 v27, 0xffff, v2
	v_lshlrev_b64 v[2:3], s0, v[27:28]
	s_add_u32 s0, s0, 8
	s_addc_u32 s1, s1, 0
	s_add_u32 s12, s12, 1
	s_addc_u32 s13, s13, 0
	v_or_b32_e32 v22, v2, v22
	s_cmp_lg_u32 s15, 0
	v_or_b32_e32 v23, v3, v23
	s_cbranch_scc1 .LBB5_97
	s_branch .LBB5_100
.LBB5_98:                               ;   in Loop: Header=BB5_46 Depth=1
	s_branch .LBB5_101
.LBB5_99:                               ;   in Loop: Header=BB5_46 Depth=1
	v_mov_b32_e32 v22, 0
	v_mov_b32_e32 v23, 0
.LBB5_100:                              ;   in Loop: Header=BB5_46 Depth=1
	s_cbranch_execnz .LBB5_102
.LBB5_101:                              ;   in Loop: Header=BB5_46 Depth=1
	global_load_dwordx2 v[22:23], v28, s[10:11]
.LBB5_102:                              ;   in Loop: Header=BB5_46 Depth=1
	v_readfirstlane_b32 s0, v32
	v_mov_b32_e32 v2, 0
	v_mov_b32_e32 v3, 0
	v_cmp_eq_u32_e64 s[0:1], s0, v32
	s_and_saveexec_b64 s[10:11], s[0:1]
	s_cbranch_execz .LBB5_108
; %bb.103:                              ;   in Loop: Header=BB5_46 Depth=1
	global_load_dwordx2 v[26:27], v28, s[2:3] offset:24 glc
	s_waitcnt vmcnt(0)
	buffer_wbinvl1_vol
	global_load_dwordx2 v[2:3], v28, s[2:3] offset:40
	global_load_dwordx2 v[8:9], v28, s[2:3]
	s_waitcnt vmcnt(1)
	v_and_b32_e32 v2, v2, v26
	v_and_b32_e32 v3, v3, v27
	v_mul_lo_u32 v3, v3, 24
	v_mul_hi_u32 v24, v2, 24
	v_mul_lo_u32 v2, v2, 24
	v_add_u32_e32 v3, v24, v3
	s_waitcnt vmcnt(0)
	v_add_co_u32_e32 v2, vcc, v8, v2
	v_addc_co_u32_e32 v3, vcc, v9, v3, vcc
	global_load_dwordx2 v[24:25], v[2:3], off glc
	s_waitcnt vmcnt(0)
	global_atomic_cmpswap_x2 v[2:3], v28, v[24:27], s[2:3] offset:24 glc
	s_waitcnt vmcnt(0)
	buffer_wbinvl1_vol
	v_cmp_ne_u64_e32 vcc, v[2:3], v[26:27]
	s_and_saveexec_b64 s[12:13], vcc
	s_cbranch_execz .LBB5_107
; %bb.104:                              ;   in Loop: Header=BB5_46 Depth=1
	s_mov_b64 s[14:15], 0
.LBB5_105:                              ;   Parent Loop BB5_46 Depth=1
                                        ; =>  This Inner Loop Header: Depth=2
	s_sleep 1
	global_load_dwordx2 v[8:9], v28, s[2:3] offset:40
	global_load_dwordx2 v[24:25], v28, s[2:3]
	v_mov_b32_e32 v27, v3
	v_mov_b32_e32 v26, v2
	s_waitcnt vmcnt(1)
	v_and_b32_e32 v2, v8, v26
	s_waitcnt vmcnt(0)
	v_mad_u64_u32 v[2:3], s[16:17], v2, 24, v[24:25]
	v_and_b32_e32 v8, v9, v27
	v_mad_u64_u32 v[8:9], s[16:17], v8, 24, v[3:4]
	v_mov_b32_e32 v3, v8
	global_load_dwordx2 v[24:25], v[2:3], off glc
	s_waitcnt vmcnt(0)
	global_atomic_cmpswap_x2 v[2:3], v28, v[24:27], s[2:3] offset:24 glc
	s_waitcnt vmcnt(0)
	buffer_wbinvl1_vol
	v_cmp_eq_u64_e32 vcc, v[2:3], v[26:27]
	s_or_b64 s[14:15], vcc, s[14:15]
	s_andn2_b64 exec, exec, s[14:15]
	s_cbranch_execnz .LBB5_105
; %bb.106:                              ;   in Loop: Header=BB5_46 Depth=1
	s_or_b64 exec, exec, s[14:15]
.LBB5_107:                              ;   in Loop: Header=BB5_46 Depth=1
	s_or_b64 exec, exec, s[12:13]
.LBB5_108:                              ;   in Loop: Header=BB5_46 Depth=1
	s_or_b64 exec, exec, s[10:11]
	global_load_dwordx2 v[8:9], v28, s[2:3] offset:40
	global_load_dwordx4 v[24:27], v28, s[2:3]
	v_readfirstlane_b32 s11, v3
	v_readfirstlane_b32 s10, v2
	s_mov_b64 s[12:13], exec
	s_waitcnt vmcnt(1)
	v_readfirstlane_b32 s14, v8
	v_readfirstlane_b32 s15, v9
	s_and_b64 s[14:15], s[14:15], s[10:11]
	s_mul_i32 s16, s15, 24
	s_mul_hi_u32 s17, s14, 24
	s_mul_i32 s18, s14, 24
	s_add_i32 s16, s17, s16
	v_mov_b32_e32 v2, s16
	s_waitcnt vmcnt(0)
	v_add_co_u32_e32 v29, vcc, s18, v24
	v_addc_co_u32_e32 v30, vcc, v25, v2, vcc
	s_and_saveexec_b64 s[16:17], s[0:1]
	s_cbranch_execz .LBB5_110
; %bb.109:                              ;   in Loop: Header=BB5_46 Depth=1
	v_mov_b32_e32 v8, s12
	v_mov_b32_e32 v9, s13
	global_store_dwordx4 v[29:30], v[8:11], off offset:8
.LBB5_110:                              ;   in Loop: Header=BB5_46 Depth=1
	s_or_b64 exec, exec, s[16:17]
	s_lshl_b64 s[12:13], s[14:15], 12
	v_mov_b32_e32 v2, s13
	v_add_co_u32_e32 v8, vcc, s12, v26
	v_addc_co_u32_e32 v9, vcc, v27, v2, vcc
	v_cmp_lt_u64_e64 vcc, s[4:5], 57
	s_lshl_b32 s12, s8, 2
	v_cndmask_b32_e32 v2, 0, v33, vcc
	s_add_i32 s12, s12, 28
	v_and_b32_e32 v3, 0xffffff1f, v4
	s_and_b32 s12, s12, 0x1e0
	v_or_b32_e32 v2, v3, v2
	v_or_b32_e32 v4, s12, v2
	v_readfirstlane_b32 s12, v8
	v_readfirstlane_b32 s13, v9
	s_nop 4
	global_store_dwordx4 v31, v[4:7], s[12:13]
	global_store_dwordx4 v31, v[12:15], s[12:13] offset:16
	global_store_dwordx4 v31, v[16:19], s[12:13] offset:32
	;; [unrolled: 1-line block ×3, first 2 shown]
	s_and_saveexec_b64 s[12:13], s[0:1]
	s_cbranch_execz .LBB5_118
; %bb.111:                              ;   in Loop: Header=BB5_46 Depth=1
	global_load_dwordx2 v[14:15], v28, s[2:3] offset:32 glc
	global_load_dwordx2 v[2:3], v28, s[2:3] offset:40
	v_mov_b32_e32 v12, s10
	v_mov_b32_e32 v13, s11
	s_waitcnt vmcnt(0)
	v_readfirstlane_b32 s14, v2
	v_readfirstlane_b32 s15, v3
	s_and_b64 s[14:15], s[14:15], s[10:11]
	s_mul_i32 s15, s15, 24
	s_mul_hi_u32 s16, s14, 24
	s_mul_i32 s14, s14, 24
	s_add_i32 s15, s16, s15
	v_mov_b32_e32 v2, s15
	v_add_co_u32_e32 v6, vcc, s14, v24
	v_addc_co_u32_e32 v7, vcc, v25, v2, vcc
	global_store_dwordx2 v[6:7], v[14:15], off
	s_waitcnt vmcnt(0)
	global_atomic_cmpswap_x2 v[4:5], v28, v[12:15], s[2:3] offset:32 glc
	s_waitcnt vmcnt(0)
	v_cmp_ne_u64_e32 vcc, v[4:5], v[14:15]
	s_and_saveexec_b64 s[14:15], vcc
	s_cbranch_execz .LBB5_114
; %bb.112:                              ;   in Loop: Header=BB5_46 Depth=1
	s_mov_b64 s[16:17], 0
.LBB5_113:                              ;   Parent Loop BB5_46 Depth=1
                                        ; =>  This Inner Loop Header: Depth=2
	s_sleep 1
	global_store_dwordx2 v[6:7], v[4:5], off
	v_mov_b32_e32 v2, s10
	v_mov_b32_e32 v3, s11
	s_waitcnt vmcnt(0)
	global_atomic_cmpswap_x2 v[2:3], v28, v[2:5], s[2:3] offset:32 glc
	s_waitcnt vmcnt(0)
	v_cmp_eq_u64_e32 vcc, v[2:3], v[4:5]
	v_mov_b32_e32 v5, v3
	s_or_b64 s[16:17], vcc, s[16:17]
	v_mov_b32_e32 v4, v2
	s_andn2_b64 exec, exec, s[16:17]
	s_cbranch_execnz .LBB5_113
.LBB5_114:                              ;   in Loop: Header=BB5_46 Depth=1
	s_or_b64 exec, exec, s[14:15]
	global_load_dwordx2 v[2:3], v28, s[2:3] offset:16
	s_mov_b64 s[16:17], exec
	v_mbcnt_lo_u32_b32 v4, s16, 0
	v_mbcnt_hi_u32_b32 v4, s17, v4
	v_cmp_eq_u32_e32 vcc, 0, v4
	s_and_saveexec_b64 s[14:15], vcc
	s_cbranch_execz .LBB5_116
; %bb.115:                              ;   in Loop: Header=BB5_46 Depth=1
	s_bcnt1_i32_b64 s16, s[16:17]
	v_mov_b32_e32 v27, s16
	s_waitcnt vmcnt(0)
	global_atomic_add_x2 v[2:3], v[27:28], off offset:8
.LBB5_116:                              ;   in Loop: Header=BB5_46 Depth=1
	s_or_b64 exec, exec, s[14:15]
	s_waitcnt vmcnt(0)
	global_load_dwordx2 v[4:5], v[2:3], off offset:16
	s_waitcnt vmcnt(0)
	v_cmp_eq_u64_e32 vcc, 0, v[4:5]
	s_cbranch_vccnz .LBB5_118
; %bb.117:                              ;   in Loop: Header=BB5_46 Depth=1
	global_load_dword v27, v[2:3], off offset:24
	s_waitcnt vmcnt(0)
	v_readfirstlane_b32 s14, v27
	s_and_b32 m0, s14, 0xffffff
	global_store_dwordx2 v[4:5], v[27:28], off
	s_sendmsg sendmsg(MSG_INTERRUPT)
.LBB5_118:                              ;   in Loop: Header=BB5_46 Depth=1
	s_or_b64 exec, exec, s[12:13]
	v_add_co_u32_e32 v2, vcc, v8, v31
	v_addc_co_u32_e32 v3, vcc, 0, v9, vcc
	s_branch .LBB5_122
.LBB5_119:                              ;   in Loop: Header=BB5_122 Depth=2
	s_or_b64 exec, exec, s[12:13]
	v_readfirstlane_b32 s12, v4
	s_cmp_eq_u32 s12, 0
	s_cbranch_scc1 .LBB5_121
; %bb.120:                              ;   in Loop: Header=BB5_122 Depth=2
	s_sleep 1
	s_cbranch_execnz .LBB5_122
	s_branch .LBB5_124
.LBB5_121:                              ;   in Loop: Header=BB5_46 Depth=1
	s_branch .LBB5_124
.LBB5_122:                              ;   Parent Loop BB5_46 Depth=1
                                        ; =>  This Inner Loop Header: Depth=2
	v_mov_b32_e32 v4, 1
	s_and_saveexec_b64 s[12:13], s[0:1]
	s_cbranch_execz .LBB5_119
; %bb.123:                              ;   in Loop: Header=BB5_122 Depth=2
	global_load_dword v4, v[29:30], off offset:20 glc
	s_waitcnt vmcnt(0)
	buffer_wbinvl1_vol
	v_and_b32_e32 v4, 1, v4
	s_branch .LBB5_119
.LBB5_124:                              ;   in Loop: Header=BB5_46 Depth=1
	global_load_dwordx2 v[4:5], v[2:3], off
	s_and_saveexec_b64 s[12:13], s[0:1]
	s_cbranch_execz .LBB5_45
; %bb.125:                              ;   in Loop: Header=BB5_46 Depth=1
	global_load_dwordx2 v[2:3], v28, s[2:3] offset:40
	global_load_dwordx2 v[14:15], v28, s[2:3] offset:24 glc
	global_load_dwordx2 v[6:7], v28, s[2:3]
	s_waitcnt vmcnt(2)
	v_readfirstlane_b32 s14, v2
	v_readfirstlane_b32 s15, v3
	s_add_u32 s16, s14, 1
	s_addc_u32 s17, s15, 0
	s_add_u32 s0, s16, s10
	s_addc_u32 s1, s17, s11
	s_cmp_eq_u64 s[0:1], 0
	s_cselect_b32 s1, s17, s1
	s_cselect_b32 s0, s16, s0
	s_and_b64 s[10:11], s[0:1], s[14:15]
	s_mul_i32 s11, s11, 24
	s_mul_hi_u32 s14, s10, 24
	s_mul_i32 s10, s10, 24
	s_add_i32 s11, s14, s11
	v_mov_b32_e32 v3, s11
	s_waitcnt vmcnt(0)
	v_add_co_u32_e32 v2, vcc, s10, v6
	v_addc_co_u32_e32 v3, vcc, v7, v3, vcc
	v_mov_b32_e32 v12, s0
	global_store_dwordx2 v[2:3], v[14:15], off
	v_mov_b32_e32 v13, s1
	s_waitcnt vmcnt(0)
	global_atomic_cmpswap_x2 v[8:9], v28, v[12:15], s[2:3] offset:24 glc
	s_waitcnt vmcnt(0)
	v_cmp_ne_u64_e32 vcc, v[8:9], v[14:15]
	s_and_b64 exec, exec, vcc
	s_cbranch_execz .LBB5_45
; %bb.126:                              ;   in Loop: Header=BB5_46 Depth=1
	s_mov_b64 s[10:11], 0
.LBB5_127:                              ;   Parent Loop BB5_46 Depth=1
                                        ; =>  This Inner Loop Header: Depth=2
	s_sleep 1
	global_store_dwordx2 v[2:3], v[8:9], off
	v_mov_b32_e32 v6, s0
	v_mov_b32_e32 v7, s1
	s_waitcnt vmcnt(0)
	global_atomic_cmpswap_x2 v[6:7], v28, v[6:9], s[2:3] offset:24 glc
	s_waitcnt vmcnt(0)
	v_cmp_eq_u64_e32 vcc, v[6:7], v[8:9]
	v_mov_b32_e32 v9, v7
	s_or_b64 s[10:11], vcc, s[10:11]
	v_mov_b32_e32 v8, v6
	s_andn2_b64 exec, exec, s[10:11]
	s_cbranch_execnz .LBB5_127
	s_branch .LBB5_45
.LBB5_128:
	s_mov_b64 s[0:1], -1
                                        ; implicit-def: $vgpr4_vgpr5
	s_branch .LBB5_130
.LBB5_129:
	s_mov_b64 s[0:1], 0
.LBB5_130:
	s_and_b64 vcc, exec, s[0:1]
	s_cbranch_vccz .LBB5_157
; %bb.131:
	v_readfirstlane_b32 s0, v32
	v_mov_b32_e32 v8, 0
	v_mov_b32_e32 v9, 0
	v_cmp_eq_u32_e64 s[0:1], s0, v32
	s_and_saveexec_b64 s[4:5], s[0:1]
	s_cbranch_execz .LBB5_137
; %bb.132:
	v_mov_b32_e32 v2, 0
	global_load_dwordx2 v[5:6], v2, s[2:3] offset:24 glc
	s_waitcnt vmcnt(0)
	buffer_wbinvl1_vol
	global_load_dwordx2 v[3:4], v2, s[2:3] offset:40
	global_load_dwordx2 v[7:8], v2, s[2:3]
	s_waitcnt vmcnt(1)
	v_and_b32_e32 v3, v3, v5
	v_and_b32_e32 v4, v4, v6
	v_mul_lo_u32 v4, v4, 24
	v_mul_hi_u32 v9, v3, 24
	v_mul_lo_u32 v3, v3, 24
	v_add_u32_e32 v4, v9, v4
	s_waitcnt vmcnt(0)
	v_add_co_u32_e32 v3, vcc, v7, v3
	v_addc_co_u32_e32 v4, vcc, v8, v4, vcc
	global_load_dwordx2 v[3:4], v[3:4], off glc
	s_waitcnt vmcnt(0)
	global_atomic_cmpswap_x2 v[8:9], v2, v[3:6], s[2:3] offset:24 glc
	s_waitcnt vmcnt(0)
	buffer_wbinvl1_vol
	v_cmp_ne_u64_e32 vcc, v[8:9], v[5:6]
	s_and_saveexec_b64 s[6:7], vcc
	s_cbranch_execz .LBB5_136
; %bb.133:
	s_mov_b64 s[8:9], 0
.LBB5_134:                              ; =>This Inner Loop Header: Depth=1
	s_sleep 1
	global_load_dwordx2 v[3:4], v2, s[2:3] offset:40
	global_load_dwordx2 v[10:11], v2, s[2:3]
	v_mov_b32_e32 v5, v8
	v_mov_b32_e32 v6, v9
	s_waitcnt vmcnt(1)
	v_and_b32_e32 v3, v3, v5
	s_waitcnt vmcnt(0)
	v_mad_u64_u32 v[7:8], s[10:11], v3, 24, v[10:11]
	v_and_b32_e32 v4, v4, v6
	v_mov_b32_e32 v3, v8
	v_mad_u64_u32 v[3:4], s[10:11], v4, 24, v[3:4]
	v_mov_b32_e32 v8, v3
	global_load_dwordx2 v[3:4], v[7:8], off glc
	s_waitcnt vmcnt(0)
	global_atomic_cmpswap_x2 v[8:9], v2, v[3:6], s[2:3] offset:24 glc
	s_waitcnt vmcnt(0)
	buffer_wbinvl1_vol
	v_cmp_eq_u64_e32 vcc, v[8:9], v[5:6]
	s_or_b64 s[8:9], vcc, s[8:9]
	s_andn2_b64 exec, exec, s[8:9]
	s_cbranch_execnz .LBB5_134
; %bb.135:
	s_or_b64 exec, exec, s[8:9]
.LBB5_136:
	s_or_b64 exec, exec, s[6:7]
.LBB5_137:
	s_or_b64 exec, exec, s[4:5]
	v_mov_b32_e32 v2, 0
	global_load_dwordx2 v[10:11], v2, s[2:3] offset:40
	global_load_dwordx4 v[4:7], v2, s[2:3]
	v_readfirstlane_b32 s5, v9
	v_readfirstlane_b32 s4, v8
	s_mov_b64 s[6:7], exec
	s_waitcnt vmcnt(1)
	v_readfirstlane_b32 s8, v10
	v_readfirstlane_b32 s9, v11
	s_and_b64 s[8:9], s[8:9], s[4:5]
	s_mul_i32 s10, s9, 24
	s_mul_hi_u32 s11, s8, 24
	s_mul_i32 s12, s8, 24
	s_add_i32 s10, s11, s10
	v_mov_b32_e32 v3, s10
	s_waitcnt vmcnt(0)
	v_add_co_u32_e32 v8, vcc, s12, v4
	v_addc_co_u32_e32 v9, vcc, v5, v3, vcc
	s_and_saveexec_b64 s[10:11], s[0:1]
	s_cbranch_execz .LBB5_139
; %bb.138:
	v_mov_b32_e32 v11, s7
	v_mov_b32_e32 v10, s6
	;; [unrolled: 1-line block ×4, first 2 shown]
	global_store_dwordx4 v[8:9], v[10:13], off offset:8
.LBB5_139:
	s_or_b64 exec, exec, s[10:11]
	s_lshl_b64 s[6:7], s[8:9], 12
	v_mov_b32_e32 v3, s7
	v_add_co_u32_e32 v10, vcc, s6, v6
	v_addc_co_u32_e32 v11, vcc, v7, v3, vcc
	s_movk_i32 s6, 0xff1f
	v_and_or_b32 v0, v0, s6, 32
	s_mov_b32 s8, 0
	v_mov_b32_e32 v3, v2
	v_readfirstlane_b32 s6, v10
	v_readfirstlane_b32 s7, v11
	v_add_co_u32_e32 v6, vcc, v10, v31
	s_mov_b32 s9, s8
	s_mov_b32 s10, s8
	s_mov_b32 s11, s8
	s_nop 0
	global_store_dwordx4 v31, v[0:3], s[6:7]
	v_addc_co_u32_e32 v7, vcc, 0, v11, vcc
	v_mov_b32_e32 v0, s8
	v_mov_b32_e32 v1, s9
	;; [unrolled: 1-line block ×4, first 2 shown]
	global_store_dwordx4 v31, v[0:3], s[6:7] offset:16
	global_store_dwordx4 v31, v[0:3], s[6:7] offset:32
	;; [unrolled: 1-line block ×3, first 2 shown]
	s_and_saveexec_b64 s[6:7], s[0:1]
	s_cbranch_execz .LBB5_147
; %bb.140:
	v_mov_b32_e32 v10, 0
	global_load_dwordx2 v[13:14], v10, s[2:3] offset:32 glc
	global_load_dwordx2 v[0:1], v10, s[2:3] offset:40
	v_mov_b32_e32 v11, s4
	v_mov_b32_e32 v12, s5
	s_waitcnt vmcnt(0)
	v_readfirstlane_b32 s8, v0
	v_readfirstlane_b32 s9, v1
	s_and_b64 s[8:9], s[8:9], s[4:5]
	s_mul_i32 s9, s9, 24
	s_mul_hi_u32 s10, s8, 24
	s_mul_i32 s8, s8, 24
	s_add_i32 s9, s10, s9
	v_mov_b32_e32 v0, s9
	v_add_co_u32_e32 v4, vcc, s8, v4
	v_addc_co_u32_e32 v5, vcc, v5, v0, vcc
	global_store_dwordx2 v[4:5], v[13:14], off
	s_waitcnt vmcnt(0)
	global_atomic_cmpswap_x2 v[2:3], v10, v[11:14], s[2:3] offset:32 glc
	s_waitcnt vmcnt(0)
	v_cmp_ne_u64_e32 vcc, v[2:3], v[13:14]
	s_and_saveexec_b64 s[8:9], vcc
	s_cbranch_execz .LBB5_143
; %bb.141:
	s_mov_b64 s[10:11], 0
.LBB5_142:                              ; =>This Inner Loop Header: Depth=1
	s_sleep 1
	global_store_dwordx2 v[4:5], v[2:3], off
	v_mov_b32_e32 v0, s4
	v_mov_b32_e32 v1, s5
	s_waitcnt vmcnt(0)
	global_atomic_cmpswap_x2 v[0:1], v10, v[0:3], s[2:3] offset:32 glc
	s_waitcnt vmcnt(0)
	v_cmp_eq_u64_e32 vcc, v[0:1], v[2:3]
	v_mov_b32_e32 v3, v1
	s_or_b64 s[10:11], vcc, s[10:11]
	v_mov_b32_e32 v2, v0
	s_andn2_b64 exec, exec, s[10:11]
	s_cbranch_execnz .LBB5_142
.LBB5_143:
	s_or_b64 exec, exec, s[8:9]
	v_mov_b32_e32 v3, 0
	global_load_dwordx2 v[0:1], v3, s[2:3] offset:16
	s_mov_b64 s[8:9], exec
	v_mbcnt_lo_u32_b32 v2, s8, 0
	v_mbcnt_hi_u32_b32 v2, s9, v2
	v_cmp_eq_u32_e32 vcc, 0, v2
	s_and_saveexec_b64 s[10:11], vcc
	s_cbranch_execz .LBB5_145
; %bb.144:
	s_bcnt1_i32_b64 s8, s[8:9]
	v_mov_b32_e32 v2, s8
	s_waitcnt vmcnt(0)
	global_atomic_add_x2 v[0:1], v[2:3], off offset:8
.LBB5_145:
	s_or_b64 exec, exec, s[10:11]
	s_waitcnt vmcnt(0)
	global_load_dwordx2 v[2:3], v[0:1], off offset:16
	s_waitcnt vmcnt(0)
	v_cmp_eq_u64_e32 vcc, 0, v[2:3]
	s_cbranch_vccnz .LBB5_147
; %bb.146:
	global_load_dword v0, v[0:1], off offset:24
	v_mov_b32_e32 v1, 0
	s_waitcnt vmcnt(0)
	v_readfirstlane_b32 s8, v0
	s_and_b32 m0, s8, 0xffffff
	global_store_dwordx2 v[2:3], v[0:1], off
	s_sendmsg sendmsg(MSG_INTERRUPT)
.LBB5_147:
	s_or_b64 exec, exec, s[6:7]
	s_branch .LBB5_151
.LBB5_148:                              ;   in Loop: Header=BB5_151 Depth=1
	s_or_b64 exec, exec, s[6:7]
	v_readfirstlane_b32 s6, v0
	s_cmp_eq_u32 s6, 0
	s_cbranch_scc1 .LBB5_150
; %bb.149:                              ;   in Loop: Header=BB5_151 Depth=1
	s_sleep 1
	s_cbranch_execnz .LBB5_151
	s_branch .LBB5_153
.LBB5_150:
	s_branch .LBB5_153
.LBB5_151:                              ; =>This Inner Loop Header: Depth=1
	v_mov_b32_e32 v0, 1
	s_and_saveexec_b64 s[6:7], s[0:1]
	s_cbranch_execz .LBB5_148
; %bb.152:                              ;   in Loop: Header=BB5_151 Depth=1
	global_load_dword v0, v[8:9], off offset:20 glc
	s_waitcnt vmcnt(0)
	buffer_wbinvl1_vol
	v_and_b32_e32 v0, 1, v0
	s_branch .LBB5_148
.LBB5_153:
	global_load_dwordx2 v[4:5], v[6:7], off
	s_and_saveexec_b64 s[6:7], s[0:1]
	s_cbranch_execz .LBB5_156
; %bb.154:
	v_mov_b32_e32 v8, 0
	global_load_dwordx2 v[0:1], v8, s[2:3] offset:40
	global_load_dwordx2 v[11:12], v8, s[2:3] offset:24 glc
	global_load_dwordx2 v[2:3], v8, s[2:3]
	s_waitcnt vmcnt(2)
	v_readfirstlane_b32 s8, v0
	v_readfirstlane_b32 s9, v1
	s_add_u32 s10, s8, 1
	s_addc_u32 s11, s9, 0
	s_add_u32 s0, s10, s4
	s_addc_u32 s1, s11, s5
	s_cmp_eq_u64 s[0:1], 0
	s_cselect_b32 s1, s11, s1
	s_cselect_b32 s0, s10, s0
	s_and_b64 s[4:5], s[0:1], s[8:9]
	s_mul_i32 s5, s5, 24
	s_mul_hi_u32 s8, s4, 24
	s_mul_i32 s4, s4, 24
	s_add_i32 s5, s8, s5
	v_mov_b32_e32 v0, s5
	s_waitcnt vmcnt(0)
	v_add_co_u32_e32 v6, vcc, s4, v2
	v_addc_co_u32_e32 v7, vcc, v3, v0, vcc
	v_mov_b32_e32 v9, s0
	global_store_dwordx2 v[6:7], v[11:12], off
	v_mov_b32_e32 v10, s1
	s_waitcnt vmcnt(0)
	global_atomic_cmpswap_x2 v[2:3], v8, v[9:12], s[2:3] offset:24 glc
	s_mov_b64 s[4:5], 0
	s_waitcnt vmcnt(0)
	v_cmp_ne_u64_e32 vcc, v[2:3], v[11:12]
	s_and_b64 exec, exec, vcc
	s_cbranch_execz .LBB5_156
.LBB5_155:                              ; =>This Inner Loop Header: Depth=1
	s_sleep 1
	global_store_dwordx2 v[6:7], v[2:3], off
	v_mov_b32_e32 v0, s0
	v_mov_b32_e32 v1, s1
	s_waitcnt vmcnt(0)
	global_atomic_cmpswap_x2 v[0:1], v8, v[0:3], s[2:3] offset:24 glc
	s_waitcnt vmcnt(0)
	v_cmp_eq_u64_e32 vcc, v[0:1], v[2:3]
	v_mov_b32_e32 v3, v1
	s_or_b64 s[4:5], vcc, s[4:5]
	v_mov_b32_e32 v2, v0
	s_andn2_b64 exec, exec, s[4:5]
	s_cbranch_execnz .LBB5_155
.LBB5_156:
	s_or_b64 exec, exec, s[6:7]
.LBB5_157:
	s_getpc_b64 s[4:5]
	s_add_u32 s4, s4, .str.1@rel32@lo+4
	s_addc_u32 s5, s5, .str.1@rel32@hi+12
	s_cmp_lg_u64 s[4:5], 0
	s_cbranch_scc0 .LBB5_242
; %bb.158:
	s_waitcnt vmcnt(0)
	v_and_b32_e32 v29, 2, v4
	v_mov_b32_e32 v26, 0
	v_and_b32_e32 v0, -3, v4
	v_mov_b32_e32 v1, v5
	s_mov_b64 s[6:7], 0x61
	v_mov_b32_e32 v8, 2
	v_mov_b32_e32 v9, 1
	s_branch .LBB5_160
.LBB5_159:                              ;   in Loop: Header=BB5_160 Depth=1
	s_or_b64 exec, exec, s[12:13]
	s_sub_u32 s6, s6, s8
	s_subb_u32 s7, s7, s9
	s_add_u32 s4, s4, s8
	s_addc_u32 s5, s5, s9
	s_cmp_lg_u64 s[6:7], 0
	s_cbranch_scc0 .LBB5_243
.LBB5_160:                              ; =>This Loop Header: Depth=1
                                        ;     Child Loop BB5_163 Depth 2
                                        ;     Child Loop BB5_171 Depth 2
	;; [unrolled: 1-line block ×11, first 2 shown]
	v_cmp_lt_u64_e64 s[0:1], s[6:7], 56
	v_cmp_gt_u64_e64 s[10:11], s[6:7], 7
	s_and_b64 s[0:1], s[0:1], exec
	s_cselect_b32 s9, s7, 0
	s_cselect_b32 s8, s6, 56
	s_add_u32 s0, s4, 8
	s_addc_u32 s1, s5, 0
	s_and_b64 vcc, exec, s[10:11]
	s_cbranch_vccnz .LBB5_164
; %bb.161:                              ;   in Loop: Header=BB5_160 Depth=1
	s_cmp_eq_u64 s[6:7], 0
	s_cbranch_scc1 .LBB5_165
; %bb.162:                              ;   in Loop: Header=BB5_160 Depth=1
	v_mov_b32_e32 v2, 0
	s_lshl_b64 s[0:1], s[8:9], 3
	s_mov_b64 s[10:11], 0
	v_mov_b32_e32 v3, 0
	s_mov_b64 s[12:13], s[4:5]
.LBB5_163:                              ;   Parent Loop BB5_160 Depth=1
                                        ; =>  This Inner Loop Header: Depth=2
	global_load_ubyte v6, v26, s[12:13]
	s_waitcnt vmcnt(0)
	v_and_b32_e32 v25, 0xffff, v6
	v_lshlrev_b64 v[6:7], s10, v[25:26]
	s_add_u32 s10, s10, 8
	s_addc_u32 s11, s11, 0
	s_add_u32 s12, s12, 1
	s_addc_u32 s13, s13, 0
	v_or_b32_e32 v2, v6, v2
	s_cmp_lg_u32 s0, s10
	v_or_b32_e32 v3, v7, v3
	s_cbranch_scc1 .LBB5_163
	s_branch .LBB5_166
.LBB5_164:                              ;   in Loop: Header=BB5_160 Depth=1
	s_mov_b32 s14, 0
	s_branch .LBB5_167
.LBB5_165:                              ;   in Loop: Header=BB5_160 Depth=1
	v_mov_b32_e32 v2, 0
	v_mov_b32_e32 v3, 0
.LBB5_166:                              ;   in Loop: Header=BB5_160 Depth=1
	s_mov_b64 s[0:1], s[4:5]
	s_mov_b32 s14, 0
	s_cbranch_execnz .LBB5_168
.LBB5_167:                              ;   in Loop: Header=BB5_160 Depth=1
	global_load_dwordx2 v[2:3], v26, s[4:5]
	s_add_i32 s14, s8, -8
.LBB5_168:                              ;   in Loop: Header=BB5_160 Depth=1
	s_add_u32 s10, s0, 8
	s_addc_u32 s11, s1, 0
	s_cmp_gt_u32 s14, 7
	s_cbranch_scc1 .LBB5_172
; %bb.169:                              ;   in Loop: Header=BB5_160 Depth=1
	s_cmp_eq_u32 s14, 0
	s_cbranch_scc1 .LBB5_173
; %bb.170:                              ;   in Loop: Header=BB5_160 Depth=1
	v_mov_b32_e32 v10, 0
	s_mov_b64 s[10:11], 0
	v_mov_b32_e32 v11, 0
	s_mov_b64 s[12:13], 0
.LBB5_171:                              ;   Parent Loop BB5_160 Depth=1
                                        ; =>  This Inner Loop Header: Depth=2
	s_add_u32 s16, s0, s12
	s_addc_u32 s17, s1, s13
	global_load_ubyte v6, v26, s[16:17]
	s_add_u32 s12, s12, 1
	s_addc_u32 s13, s13, 0
	s_waitcnt vmcnt(0)
	v_and_b32_e32 v25, 0xffff, v6
	v_lshlrev_b64 v[6:7], s10, v[25:26]
	s_add_u32 s10, s10, 8
	s_addc_u32 s11, s11, 0
	v_or_b32_e32 v10, v6, v10
	s_cmp_lg_u32 s14, s12
	v_or_b32_e32 v11, v7, v11
	s_cbranch_scc1 .LBB5_171
	s_branch .LBB5_174
.LBB5_172:                              ;   in Loop: Header=BB5_160 Depth=1
                                        ; implicit-def: $vgpr10_vgpr11
	s_mov_b32 s15, 0
	s_branch .LBB5_175
.LBB5_173:                              ;   in Loop: Header=BB5_160 Depth=1
	v_mov_b32_e32 v10, 0
	v_mov_b32_e32 v11, 0
.LBB5_174:                              ;   in Loop: Header=BB5_160 Depth=1
	s_mov_b64 s[10:11], s[0:1]
	s_mov_b32 s15, 0
	s_cbranch_execnz .LBB5_176
.LBB5_175:                              ;   in Loop: Header=BB5_160 Depth=1
	global_load_dwordx2 v[10:11], v26, s[0:1]
	s_add_i32 s15, s14, -8
.LBB5_176:                              ;   in Loop: Header=BB5_160 Depth=1
	s_add_u32 s0, s10, 8
	s_addc_u32 s1, s11, 0
	s_cmp_gt_u32 s15, 7
	s_cbranch_scc1 .LBB5_180
; %bb.177:                              ;   in Loop: Header=BB5_160 Depth=1
	s_cmp_eq_u32 s15, 0
	s_cbranch_scc1 .LBB5_181
; %bb.178:                              ;   in Loop: Header=BB5_160 Depth=1
	v_mov_b32_e32 v12, 0
	s_mov_b64 s[0:1], 0
	v_mov_b32_e32 v13, 0
	s_mov_b64 s[12:13], 0
.LBB5_179:                              ;   Parent Loop BB5_160 Depth=1
                                        ; =>  This Inner Loop Header: Depth=2
	s_add_u32 s16, s10, s12
	s_addc_u32 s17, s11, s13
	global_load_ubyte v6, v26, s[16:17]
	s_add_u32 s12, s12, 1
	s_addc_u32 s13, s13, 0
	s_waitcnt vmcnt(0)
	v_and_b32_e32 v25, 0xffff, v6
	v_lshlrev_b64 v[6:7], s0, v[25:26]
	s_add_u32 s0, s0, 8
	s_addc_u32 s1, s1, 0
	v_or_b32_e32 v12, v6, v12
	s_cmp_lg_u32 s15, s12
	v_or_b32_e32 v13, v7, v13
	s_cbranch_scc1 .LBB5_179
	s_branch .LBB5_182
.LBB5_180:                              ;   in Loop: Header=BB5_160 Depth=1
	s_mov_b32 s14, 0
	s_branch .LBB5_183
.LBB5_181:                              ;   in Loop: Header=BB5_160 Depth=1
	v_mov_b32_e32 v12, 0
	v_mov_b32_e32 v13, 0
.LBB5_182:                              ;   in Loop: Header=BB5_160 Depth=1
	s_mov_b64 s[0:1], s[10:11]
	s_mov_b32 s14, 0
	s_cbranch_execnz .LBB5_184
.LBB5_183:                              ;   in Loop: Header=BB5_160 Depth=1
	global_load_dwordx2 v[12:13], v26, s[10:11]
	s_add_i32 s14, s15, -8
.LBB5_184:                              ;   in Loop: Header=BB5_160 Depth=1
	s_add_u32 s10, s0, 8
	s_addc_u32 s11, s1, 0
	s_cmp_gt_u32 s14, 7
	s_cbranch_scc1 .LBB5_188
; %bb.185:                              ;   in Loop: Header=BB5_160 Depth=1
	s_cmp_eq_u32 s14, 0
	s_cbranch_scc1 .LBB5_189
; %bb.186:                              ;   in Loop: Header=BB5_160 Depth=1
	v_mov_b32_e32 v14, 0
	s_mov_b64 s[10:11], 0
	v_mov_b32_e32 v15, 0
	s_mov_b64 s[12:13], 0
.LBB5_187:                              ;   Parent Loop BB5_160 Depth=1
                                        ; =>  This Inner Loop Header: Depth=2
	s_add_u32 s16, s0, s12
	s_addc_u32 s17, s1, s13
	global_load_ubyte v6, v26, s[16:17]
	s_add_u32 s12, s12, 1
	s_addc_u32 s13, s13, 0
	s_waitcnt vmcnt(0)
	v_and_b32_e32 v25, 0xffff, v6
	v_lshlrev_b64 v[6:7], s10, v[25:26]
	s_add_u32 s10, s10, 8
	s_addc_u32 s11, s11, 0
	v_or_b32_e32 v14, v6, v14
	s_cmp_lg_u32 s14, s12
	v_or_b32_e32 v15, v7, v15
	s_cbranch_scc1 .LBB5_187
	s_branch .LBB5_190
.LBB5_188:                              ;   in Loop: Header=BB5_160 Depth=1
                                        ; implicit-def: $vgpr14_vgpr15
	s_mov_b32 s15, 0
	s_branch .LBB5_191
.LBB5_189:                              ;   in Loop: Header=BB5_160 Depth=1
	v_mov_b32_e32 v14, 0
	v_mov_b32_e32 v15, 0
.LBB5_190:                              ;   in Loop: Header=BB5_160 Depth=1
	s_mov_b64 s[10:11], s[0:1]
	s_mov_b32 s15, 0
	s_cbranch_execnz .LBB5_192
.LBB5_191:                              ;   in Loop: Header=BB5_160 Depth=1
	global_load_dwordx2 v[14:15], v26, s[0:1]
	s_add_i32 s15, s14, -8
.LBB5_192:                              ;   in Loop: Header=BB5_160 Depth=1
	s_add_u32 s0, s10, 8
	s_addc_u32 s1, s11, 0
	s_cmp_gt_u32 s15, 7
	s_cbranch_scc1 .LBB5_196
; %bb.193:                              ;   in Loop: Header=BB5_160 Depth=1
	s_cmp_eq_u32 s15, 0
	s_cbranch_scc1 .LBB5_197
; %bb.194:                              ;   in Loop: Header=BB5_160 Depth=1
	v_mov_b32_e32 v16, 0
	s_mov_b64 s[0:1], 0
	v_mov_b32_e32 v17, 0
	s_mov_b64 s[12:13], 0
.LBB5_195:                              ;   Parent Loop BB5_160 Depth=1
                                        ; =>  This Inner Loop Header: Depth=2
	s_add_u32 s16, s10, s12
	s_addc_u32 s17, s11, s13
	global_load_ubyte v6, v26, s[16:17]
	s_add_u32 s12, s12, 1
	s_addc_u32 s13, s13, 0
	s_waitcnt vmcnt(0)
	v_and_b32_e32 v25, 0xffff, v6
	v_lshlrev_b64 v[6:7], s0, v[25:26]
	s_add_u32 s0, s0, 8
	s_addc_u32 s1, s1, 0
	v_or_b32_e32 v16, v6, v16
	s_cmp_lg_u32 s15, s12
	v_or_b32_e32 v17, v7, v17
	s_cbranch_scc1 .LBB5_195
	s_branch .LBB5_198
.LBB5_196:                              ;   in Loop: Header=BB5_160 Depth=1
	s_mov_b32 s14, 0
	s_branch .LBB5_199
.LBB5_197:                              ;   in Loop: Header=BB5_160 Depth=1
	v_mov_b32_e32 v16, 0
	v_mov_b32_e32 v17, 0
.LBB5_198:                              ;   in Loop: Header=BB5_160 Depth=1
	s_mov_b64 s[0:1], s[10:11]
	s_mov_b32 s14, 0
	s_cbranch_execnz .LBB5_200
.LBB5_199:                              ;   in Loop: Header=BB5_160 Depth=1
	global_load_dwordx2 v[16:17], v26, s[10:11]
	s_add_i32 s14, s15, -8
.LBB5_200:                              ;   in Loop: Header=BB5_160 Depth=1
	s_add_u32 s10, s0, 8
	s_addc_u32 s11, s1, 0
	s_cmp_gt_u32 s14, 7
	s_cbranch_scc1 .LBB5_204
; %bb.201:                              ;   in Loop: Header=BB5_160 Depth=1
	s_cmp_eq_u32 s14, 0
	s_cbranch_scc1 .LBB5_205
; %bb.202:                              ;   in Loop: Header=BB5_160 Depth=1
	v_mov_b32_e32 v18, 0
	s_mov_b64 s[10:11], 0
	v_mov_b32_e32 v19, 0
	s_mov_b64 s[12:13], 0
.LBB5_203:                              ;   Parent Loop BB5_160 Depth=1
                                        ; =>  This Inner Loop Header: Depth=2
	s_add_u32 s16, s0, s12
	s_addc_u32 s17, s1, s13
	global_load_ubyte v6, v26, s[16:17]
	s_add_u32 s12, s12, 1
	s_addc_u32 s13, s13, 0
	s_waitcnt vmcnt(0)
	v_and_b32_e32 v25, 0xffff, v6
	v_lshlrev_b64 v[6:7], s10, v[25:26]
	s_add_u32 s10, s10, 8
	s_addc_u32 s11, s11, 0
	v_or_b32_e32 v18, v6, v18
	s_cmp_lg_u32 s14, s12
	v_or_b32_e32 v19, v7, v19
	s_cbranch_scc1 .LBB5_203
	s_branch .LBB5_206
.LBB5_204:                              ;   in Loop: Header=BB5_160 Depth=1
                                        ; implicit-def: $vgpr18_vgpr19
	s_mov_b32 s15, 0
	s_branch .LBB5_207
.LBB5_205:                              ;   in Loop: Header=BB5_160 Depth=1
	v_mov_b32_e32 v18, 0
	v_mov_b32_e32 v19, 0
.LBB5_206:                              ;   in Loop: Header=BB5_160 Depth=1
	s_mov_b64 s[10:11], s[0:1]
	s_mov_b32 s15, 0
	s_cbranch_execnz .LBB5_208
.LBB5_207:                              ;   in Loop: Header=BB5_160 Depth=1
	global_load_dwordx2 v[18:19], v26, s[0:1]
	s_add_i32 s15, s14, -8
.LBB5_208:                              ;   in Loop: Header=BB5_160 Depth=1
	s_cmp_gt_u32 s15, 7
	s_cbranch_scc1 .LBB5_212
; %bb.209:                              ;   in Loop: Header=BB5_160 Depth=1
	s_cmp_eq_u32 s15, 0
	s_cbranch_scc1 .LBB5_213
; %bb.210:                              ;   in Loop: Header=BB5_160 Depth=1
	v_mov_b32_e32 v20, 0
	s_mov_b64 s[0:1], 0
	v_mov_b32_e32 v21, 0
	s_mov_b64 s[12:13], s[10:11]
.LBB5_211:                              ;   Parent Loop BB5_160 Depth=1
                                        ; =>  This Inner Loop Header: Depth=2
	global_load_ubyte v6, v26, s[12:13]
	s_add_i32 s15, s15, -1
	s_waitcnt vmcnt(0)
	v_and_b32_e32 v25, 0xffff, v6
	v_lshlrev_b64 v[6:7], s0, v[25:26]
	s_add_u32 s0, s0, 8
	s_addc_u32 s1, s1, 0
	s_add_u32 s12, s12, 1
	s_addc_u32 s13, s13, 0
	v_or_b32_e32 v20, v6, v20
	s_cmp_lg_u32 s15, 0
	v_or_b32_e32 v21, v7, v21
	s_cbranch_scc1 .LBB5_211
	s_branch .LBB5_214
.LBB5_212:                              ;   in Loop: Header=BB5_160 Depth=1
	s_branch .LBB5_215
.LBB5_213:                              ;   in Loop: Header=BB5_160 Depth=1
	v_mov_b32_e32 v20, 0
	v_mov_b32_e32 v21, 0
.LBB5_214:                              ;   in Loop: Header=BB5_160 Depth=1
	s_cbranch_execnz .LBB5_216
.LBB5_215:                              ;   in Loop: Header=BB5_160 Depth=1
	global_load_dwordx2 v[20:21], v26, s[10:11]
.LBB5_216:                              ;   in Loop: Header=BB5_160 Depth=1
	v_readfirstlane_b32 s0, v32
	v_mov_b32_e32 v6, 0
	v_mov_b32_e32 v7, 0
	v_cmp_eq_u32_e64 s[0:1], s0, v32
	s_and_saveexec_b64 s[10:11], s[0:1]
	s_cbranch_execz .LBB5_222
; %bb.217:                              ;   in Loop: Header=BB5_160 Depth=1
	global_load_dwordx2 v[24:25], v26, s[2:3] offset:24 glc
	s_waitcnt vmcnt(0)
	buffer_wbinvl1_vol
	global_load_dwordx2 v[6:7], v26, s[2:3] offset:40
	global_load_dwordx2 v[22:23], v26, s[2:3]
	s_waitcnt vmcnt(1)
	v_and_b32_e32 v6, v6, v24
	v_and_b32_e32 v7, v7, v25
	v_mul_lo_u32 v7, v7, 24
	v_mul_hi_u32 v27, v6, 24
	v_mul_lo_u32 v6, v6, 24
	v_add_u32_e32 v7, v27, v7
	s_waitcnt vmcnt(0)
	v_add_co_u32_e32 v6, vcc, v22, v6
	v_addc_co_u32_e32 v7, vcc, v23, v7, vcc
	global_load_dwordx2 v[22:23], v[6:7], off glc
	s_waitcnt vmcnt(0)
	global_atomic_cmpswap_x2 v[6:7], v26, v[22:25], s[2:3] offset:24 glc
	s_waitcnt vmcnt(0)
	buffer_wbinvl1_vol
	v_cmp_ne_u64_e32 vcc, v[6:7], v[24:25]
	s_and_saveexec_b64 s[12:13], vcc
	s_cbranch_execz .LBB5_221
; %bb.218:                              ;   in Loop: Header=BB5_160 Depth=1
	s_mov_b64 s[14:15], 0
.LBB5_219:                              ;   Parent Loop BB5_160 Depth=1
                                        ; =>  This Inner Loop Header: Depth=2
	s_sleep 1
	global_load_dwordx2 v[22:23], v26, s[2:3] offset:40
	global_load_dwordx2 v[27:28], v26, s[2:3]
	v_mov_b32_e32 v25, v7
	v_mov_b32_e32 v24, v6
	s_waitcnt vmcnt(1)
	v_and_b32_e32 v6, v22, v24
	s_waitcnt vmcnt(0)
	v_mad_u64_u32 v[6:7], s[16:17], v6, 24, v[27:28]
	v_and_b32_e32 v22, v23, v25
	v_mad_u64_u32 v[22:23], s[16:17], v22, 24, v[7:8]
	v_mov_b32_e32 v7, v22
	global_load_dwordx2 v[22:23], v[6:7], off glc
	s_waitcnt vmcnt(0)
	global_atomic_cmpswap_x2 v[6:7], v26, v[22:25], s[2:3] offset:24 glc
	s_waitcnt vmcnt(0)
	buffer_wbinvl1_vol
	v_cmp_eq_u64_e32 vcc, v[6:7], v[24:25]
	s_or_b64 s[14:15], vcc, s[14:15]
	s_andn2_b64 exec, exec, s[14:15]
	s_cbranch_execnz .LBB5_219
; %bb.220:                              ;   in Loop: Header=BB5_160 Depth=1
	s_or_b64 exec, exec, s[14:15]
.LBB5_221:                              ;   in Loop: Header=BB5_160 Depth=1
	s_or_b64 exec, exec, s[12:13]
.LBB5_222:                              ;   in Loop: Header=BB5_160 Depth=1
	s_or_b64 exec, exec, s[10:11]
	global_load_dwordx2 v[27:28], v26, s[2:3] offset:40
	global_load_dwordx4 v[22:25], v26, s[2:3]
	v_readfirstlane_b32 s11, v7
	v_readfirstlane_b32 s10, v6
	s_mov_b64 s[12:13], exec
	s_waitcnt vmcnt(1)
	v_readfirstlane_b32 s14, v27
	v_readfirstlane_b32 s15, v28
	s_and_b64 s[14:15], s[14:15], s[10:11]
	s_mul_i32 s16, s15, 24
	s_mul_hi_u32 s17, s14, 24
	s_mul_i32 s18, s14, 24
	s_add_i32 s16, s17, s16
	v_mov_b32_e32 v6, s16
	s_waitcnt vmcnt(0)
	v_add_co_u32_e32 v27, vcc, s18, v22
	v_addc_co_u32_e32 v28, vcc, v23, v6, vcc
	s_and_saveexec_b64 s[16:17], s[0:1]
	s_cbranch_execz .LBB5_224
; %bb.223:                              ;   in Loop: Header=BB5_160 Depth=1
	v_mov_b32_e32 v6, s12
	v_mov_b32_e32 v7, s13
	global_store_dwordx4 v[27:28], v[6:9], off offset:8
.LBB5_224:                              ;   in Loop: Header=BB5_160 Depth=1
	s_or_b64 exec, exec, s[16:17]
	s_lshl_b64 s[12:13], s[14:15], 12
	v_mov_b32_e32 v6, s13
	v_add_co_u32_e32 v24, vcc, s12, v24
	v_addc_co_u32_e32 v30, vcc, v25, v6, vcc
	v_cmp_lt_u64_e64 vcc, s[6:7], 57
	s_lshl_b32 s12, s8, 2
	v_cndmask_b32_e32 v6, 0, v29, vcc
	s_add_i32 s12, s12, 28
	v_and_b32_e32 v0, 0xffffff1f, v0
	s_and_b32 s12, s12, 0x1e0
	v_or_b32_e32 v0, v0, v6
	v_or_b32_e32 v0, s12, v0
	v_readfirstlane_b32 s12, v24
	v_readfirstlane_b32 s13, v30
	s_nop 4
	global_store_dwordx4 v31, v[0:3], s[12:13]
	global_store_dwordx4 v31, v[10:13], s[12:13] offset:16
	global_store_dwordx4 v31, v[14:17], s[12:13] offset:32
	;; [unrolled: 1-line block ×3, first 2 shown]
	s_and_saveexec_b64 s[12:13], s[0:1]
	s_cbranch_execz .LBB5_232
; %bb.225:                              ;   in Loop: Header=BB5_160 Depth=1
	global_load_dwordx2 v[12:13], v26, s[2:3] offset:32 glc
	global_load_dwordx2 v[0:1], v26, s[2:3] offset:40
	v_mov_b32_e32 v10, s10
	v_mov_b32_e32 v11, s11
	s_waitcnt vmcnt(0)
	v_readfirstlane_b32 s14, v0
	v_readfirstlane_b32 s15, v1
	s_and_b64 s[14:15], s[14:15], s[10:11]
	s_mul_i32 s15, s15, 24
	s_mul_hi_u32 s16, s14, 24
	s_mul_i32 s14, s14, 24
	s_add_i32 s15, s16, s15
	v_mov_b32_e32 v0, s15
	v_add_co_u32_e32 v6, vcc, s14, v22
	v_addc_co_u32_e32 v7, vcc, v23, v0, vcc
	global_store_dwordx2 v[6:7], v[12:13], off
	s_waitcnt vmcnt(0)
	global_atomic_cmpswap_x2 v[2:3], v26, v[10:13], s[2:3] offset:32 glc
	s_waitcnt vmcnt(0)
	v_cmp_ne_u64_e32 vcc, v[2:3], v[12:13]
	s_and_saveexec_b64 s[14:15], vcc
	s_cbranch_execz .LBB5_228
; %bb.226:                              ;   in Loop: Header=BB5_160 Depth=1
	s_mov_b64 s[16:17], 0
.LBB5_227:                              ;   Parent Loop BB5_160 Depth=1
                                        ; =>  This Inner Loop Header: Depth=2
	s_sleep 1
	global_store_dwordx2 v[6:7], v[2:3], off
	v_mov_b32_e32 v0, s10
	v_mov_b32_e32 v1, s11
	s_waitcnt vmcnt(0)
	global_atomic_cmpswap_x2 v[0:1], v26, v[0:3], s[2:3] offset:32 glc
	s_waitcnt vmcnt(0)
	v_cmp_eq_u64_e32 vcc, v[0:1], v[2:3]
	v_mov_b32_e32 v3, v1
	s_or_b64 s[16:17], vcc, s[16:17]
	v_mov_b32_e32 v2, v0
	s_andn2_b64 exec, exec, s[16:17]
	s_cbranch_execnz .LBB5_227
.LBB5_228:                              ;   in Loop: Header=BB5_160 Depth=1
	s_or_b64 exec, exec, s[14:15]
	global_load_dwordx2 v[0:1], v26, s[2:3] offset:16
	s_mov_b64 s[16:17], exec
	v_mbcnt_lo_u32_b32 v2, s16, 0
	v_mbcnt_hi_u32_b32 v2, s17, v2
	v_cmp_eq_u32_e32 vcc, 0, v2
	s_and_saveexec_b64 s[14:15], vcc
	s_cbranch_execz .LBB5_230
; %bb.229:                              ;   in Loop: Header=BB5_160 Depth=1
	s_bcnt1_i32_b64 s16, s[16:17]
	v_mov_b32_e32 v25, s16
	s_waitcnt vmcnt(0)
	global_atomic_add_x2 v[0:1], v[25:26], off offset:8
.LBB5_230:                              ;   in Loop: Header=BB5_160 Depth=1
	s_or_b64 exec, exec, s[14:15]
	s_waitcnt vmcnt(0)
	global_load_dwordx2 v[2:3], v[0:1], off offset:16
	s_waitcnt vmcnt(0)
	v_cmp_eq_u64_e32 vcc, 0, v[2:3]
	s_cbranch_vccnz .LBB5_232
; %bb.231:                              ;   in Loop: Header=BB5_160 Depth=1
	global_load_dword v25, v[0:1], off offset:24
	s_waitcnt vmcnt(0)
	v_readfirstlane_b32 s14, v25
	s_and_b32 m0, s14, 0xffffff
	global_store_dwordx2 v[2:3], v[25:26], off
	s_sendmsg sendmsg(MSG_INTERRUPT)
.LBB5_232:                              ;   in Loop: Header=BB5_160 Depth=1
	s_or_b64 exec, exec, s[12:13]
	v_add_co_u32_e32 v0, vcc, v24, v31
	v_addc_co_u32_e32 v1, vcc, 0, v30, vcc
	s_branch .LBB5_236
.LBB5_233:                              ;   in Loop: Header=BB5_236 Depth=2
	s_or_b64 exec, exec, s[12:13]
	v_readfirstlane_b32 s12, v2
	s_cmp_eq_u32 s12, 0
	s_cbranch_scc1 .LBB5_235
; %bb.234:                              ;   in Loop: Header=BB5_236 Depth=2
	s_sleep 1
	s_cbranch_execnz .LBB5_236
	s_branch .LBB5_238
.LBB5_235:                              ;   in Loop: Header=BB5_160 Depth=1
	s_branch .LBB5_238
.LBB5_236:                              ;   Parent Loop BB5_160 Depth=1
                                        ; =>  This Inner Loop Header: Depth=2
	v_mov_b32_e32 v2, 1
	s_and_saveexec_b64 s[12:13], s[0:1]
	s_cbranch_execz .LBB5_233
; %bb.237:                              ;   in Loop: Header=BB5_236 Depth=2
	global_load_dword v2, v[27:28], off offset:20 glc
	s_waitcnt vmcnt(0)
	buffer_wbinvl1_vol
	v_and_b32_e32 v2, 1, v2
	s_branch .LBB5_233
.LBB5_238:                              ;   in Loop: Header=BB5_160 Depth=1
	global_load_dwordx2 v[0:1], v[0:1], off
	s_and_saveexec_b64 s[12:13], s[0:1]
	s_cbranch_execz .LBB5_159
; %bb.239:                              ;   in Loop: Header=BB5_160 Depth=1
	global_load_dwordx2 v[2:3], v26, s[2:3] offset:40
	global_load_dwordx2 v[14:15], v26, s[2:3] offset:24 glc
	global_load_dwordx2 v[6:7], v26, s[2:3]
	s_waitcnt vmcnt(2)
	v_readfirstlane_b32 s14, v2
	v_readfirstlane_b32 s15, v3
	s_add_u32 s16, s14, 1
	s_addc_u32 s17, s15, 0
	s_add_u32 s0, s16, s10
	s_addc_u32 s1, s17, s11
	s_cmp_eq_u64 s[0:1], 0
	s_cselect_b32 s1, s17, s1
	s_cselect_b32 s0, s16, s0
	s_and_b64 s[10:11], s[0:1], s[14:15]
	s_mul_i32 s11, s11, 24
	s_mul_hi_u32 s14, s10, 24
	s_mul_i32 s10, s10, 24
	s_add_i32 s11, s14, s11
	v_mov_b32_e32 v3, s11
	s_waitcnt vmcnt(0)
	v_add_co_u32_e32 v2, vcc, s10, v6
	v_addc_co_u32_e32 v3, vcc, v7, v3, vcc
	v_mov_b32_e32 v12, s0
	global_store_dwordx2 v[2:3], v[14:15], off
	v_mov_b32_e32 v13, s1
	s_waitcnt vmcnt(0)
	global_atomic_cmpswap_x2 v[12:13], v26, v[12:15], s[2:3] offset:24 glc
	s_waitcnt vmcnt(0)
	v_cmp_ne_u64_e32 vcc, v[12:13], v[14:15]
	s_and_b64 exec, exec, vcc
	s_cbranch_execz .LBB5_159
; %bb.240:                              ;   in Loop: Header=BB5_160 Depth=1
	s_mov_b64 s[10:11], 0
.LBB5_241:                              ;   Parent Loop BB5_160 Depth=1
                                        ; =>  This Inner Loop Header: Depth=2
	s_sleep 1
	global_store_dwordx2 v[2:3], v[12:13], off
	v_mov_b32_e32 v10, s0
	v_mov_b32_e32 v11, s1
	s_waitcnt vmcnt(0)
	global_atomic_cmpswap_x2 v[6:7], v26, v[10:13], s[2:3] offset:24 glc
	s_waitcnt vmcnt(0)
	v_cmp_eq_u64_e32 vcc, v[6:7], v[12:13]
	v_mov_b32_e32 v13, v7
	s_or_b64 s[10:11], vcc, s[10:11]
	v_mov_b32_e32 v12, v6
	s_andn2_b64 exec, exec, s[10:11]
	s_cbranch_execnz .LBB5_241
	s_branch .LBB5_159
.LBB5_242:
	s_mov_b64 s[0:1], -1
                                        ; implicit-def: $vgpr0_vgpr1
	s_branch .LBB5_244
.LBB5_243:
	s_mov_b64 s[0:1], 0
.LBB5_244:
	s_and_b64 vcc, exec, s[0:1]
	s_cbranch_vccz .LBB5_271
; %bb.245:
	v_readfirstlane_b32 s0, v32
	v_mov_b32_e32 v7, 0
	v_mov_b32_e32 v8, 0
	v_cmp_eq_u32_e64 s[0:1], s0, v32
	s_and_saveexec_b64 s[4:5], s[0:1]
	s_cbranch_execz .LBB5_251
; %bb.246:
	s_waitcnt vmcnt(0)
	v_mov_b32_e32 v0, 0
	global_load_dwordx2 v[9:10], v0, s[2:3] offset:24 glc
	s_waitcnt vmcnt(0)
	buffer_wbinvl1_vol
	global_load_dwordx2 v[1:2], v0, s[2:3] offset:40
	global_load_dwordx2 v[6:7], v0, s[2:3]
	s_waitcnt vmcnt(1)
	v_and_b32_e32 v1, v1, v9
	v_and_b32_e32 v2, v2, v10
	v_mul_lo_u32 v2, v2, 24
	v_mul_hi_u32 v3, v1, 24
	v_mul_lo_u32 v1, v1, 24
	v_add_u32_e32 v2, v3, v2
	s_waitcnt vmcnt(0)
	v_add_co_u32_e32 v1, vcc, v6, v1
	v_addc_co_u32_e32 v2, vcc, v7, v2, vcc
	global_load_dwordx2 v[7:8], v[1:2], off glc
	s_waitcnt vmcnt(0)
	global_atomic_cmpswap_x2 v[7:8], v0, v[7:10], s[2:3] offset:24 glc
	s_waitcnt vmcnt(0)
	buffer_wbinvl1_vol
	v_cmp_ne_u64_e32 vcc, v[7:8], v[9:10]
	s_and_saveexec_b64 s[6:7], vcc
	s_cbranch_execz .LBB5_250
; %bb.247:
	s_mov_b64 s[8:9], 0
.LBB5_248:                              ; =>This Inner Loop Header: Depth=1
	s_sleep 1
	global_load_dwordx2 v[1:2], v0, s[2:3] offset:40
	global_load_dwordx2 v[11:12], v0, s[2:3]
	v_mov_b32_e32 v10, v8
	v_mov_b32_e32 v9, v7
	s_waitcnt vmcnt(1)
	v_and_b32_e32 v1, v1, v9
	s_waitcnt vmcnt(0)
	v_mad_u64_u32 v[6:7], s[10:11], v1, 24, v[11:12]
	v_and_b32_e32 v2, v2, v10
	v_mov_b32_e32 v1, v7
	v_mad_u64_u32 v[1:2], s[10:11], v2, 24, v[1:2]
	v_mov_b32_e32 v7, v1
	global_load_dwordx2 v[7:8], v[6:7], off glc
	s_waitcnt vmcnt(0)
	global_atomic_cmpswap_x2 v[7:8], v0, v[7:10], s[2:3] offset:24 glc
	s_waitcnt vmcnt(0)
	buffer_wbinvl1_vol
	v_cmp_eq_u64_e32 vcc, v[7:8], v[9:10]
	s_or_b64 s[8:9], vcc, s[8:9]
	s_andn2_b64 exec, exec, s[8:9]
	s_cbranch_execnz .LBB5_248
; %bb.249:
	s_or_b64 exec, exec, s[8:9]
.LBB5_250:
	s_or_b64 exec, exec, s[6:7]
.LBB5_251:
	s_or_b64 exec, exec, s[4:5]
	v_mov_b32_e32 v6, 0
	global_load_dwordx2 v[9:10], v6, s[2:3] offset:40
	global_load_dwordx4 v[0:3], v6, s[2:3]
	v_readfirstlane_b32 s5, v8
	v_readfirstlane_b32 s4, v7
	s_mov_b64 s[6:7], exec
	s_waitcnt vmcnt(1)
	v_readfirstlane_b32 s8, v9
	v_readfirstlane_b32 s9, v10
	s_and_b64 s[8:9], s[8:9], s[4:5]
	s_mul_i32 s10, s9, 24
	s_mul_hi_u32 s11, s8, 24
	s_mul_i32 s12, s8, 24
	s_add_i32 s10, s11, s10
	v_mov_b32_e32 v7, s10
	s_waitcnt vmcnt(0)
	v_add_co_u32_e32 v8, vcc, s12, v0
	v_addc_co_u32_e32 v9, vcc, v1, v7, vcc
	s_and_saveexec_b64 s[10:11], s[0:1]
	s_cbranch_execz .LBB5_253
; %bb.252:
	v_mov_b32_e32 v11, s7
	v_mov_b32_e32 v10, s6
	;; [unrolled: 1-line block ×4, first 2 shown]
	global_store_dwordx4 v[8:9], v[10:13], off offset:8
.LBB5_253:
	s_or_b64 exec, exec, s[10:11]
	s_lshl_b64 s[6:7], s[8:9], 12
	v_mov_b32_e32 v7, s7
	v_add_co_u32_e32 v2, vcc, s6, v2
	v_addc_co_u32_e32 v3, vcc, v3, v7, vcc
	s_movk_i32 s6, 0xff1f
	v_and_or_b32 v4, v4, s6, 32
	v_add_co_u32_e32 v10, vcc, v2, v31
	s_mov_b32 s8, 0
	v_mov_b32_e32 v7, v6
	v_readfirstlane_b32 s6, v2
	v_readfirstlane_b32 s7, v3
	v_addc_co_u32_e32 v11, vcc, 0, v3, vcc
	s_mov_b32 s9, s8
	s_mov_b32 s10, s8
	;; [unrolled: 1-line block ×3, first 2 shown]
	s_nop 0
	global_store_dwordx4 v31, v[4:7], s[6:7]
	v_mov_b32_e32 v2, s8
	v_mov_b32_e32 v3, s9
	;; [unrolled: 1-line block ×4, first 2 shown]
	global_store_dwordx4 v31, v[2:5], s[6:7] offset:16
	global_store_dwordx4 v31, v[2:5], s[6:7] offset:32
	;; [unrolled: 1-line block ×3, first 2 shown]
	s_and_saveexec_b64 s[6:7], s[0:1]
	s_cbranch_execz .LBB5_261
; %bb.254:
	v_mov_b32_e32 v6, 0
	global_load_dwordx2 v[14:15], v6, s[2:3] offset:32 glc
	global_load_dwordx2 v[2:3], v6, s[2:3] offset:40
	v_mov_b32_e32 v12, s4
	v_mov_b32_e32 v13, s5
	s_waitcnt vmcnt(0)
	v_readfirstlane_b32 s8, v2
	v_readfirstlane_b32 s9, v3
	s_and_b64 s[8:9], s[8:9], s[4:5]
	s_mul_i32 s9, s9, 24
	s_mul_hi_u32 s10, s8, 24
	s_mul_i32 s8, s8, 24
	s_add_i32 s9, s10, s9
	v_mov_b32_e32 v2, s9
	v_add_co_u32_e32 v4, vcc, s8, v0
	v_addc_co_u32_e32 v5, vcc, v1, v2, vcc
	global_store_dwordx2 v[4:5], v[14:15], off
	s_waitcnt vmcnt(0)
	global_atomic_cmpswap_x2 v[2:3], v6, v[12:15], s[2:3] offset:32 glc
	s_waitcnt vmcnt(0)
	v_cmp_ne_u64_e32 vcc, v[2:3], v[14:15]
	s_and_saveexec_b64 s[8:9], vcc
	s_cbranch_execz .LBB5_257
; %bb.255:
	s_mov_b64 s[10:11], 0
.LBB5_256:                              ; =>This Inner Loop Header: Depth=1
	s_sleep 1
	global_store_dwordx2 v[4:5], v[2:3], off
	v_mov_b32_e32 v0, s4
	v_mov_b32_e32 v1, s5
	s_waitcnt vmcnt(0)
	global_atomic_cmpswap_x2 v[0:1], v6, v[0:3], s[2:3] offset:32 glc
	s_waitcnt vmcnt(0)
	v_cmp_eq_u64_e32 vcc, v[0:1], v[2:3]
	v_mov_b32_e32 v3, v1
	s_or_b64 s[10:11], vcc, s[10:11]
	v_mov_b32_e32 v2, v0
	s_andn2_b64 exec, exec, s[10:11]
	s_cbranch_execnz .LBB5_256
.LBB5_257:
	s_or_b64 exec, exec, s[8:9]
	v_mov_b32_e32 v3, 0
	global_load_dwordx2 v[0:1], v3, s[2:3] offset:16
	s_mov_b64 s[8:9], exec
	v_mbcnt_lo_u32_b32 v2, s8, 0
	v_mbcnt_hi_u32_b32 v2, s9, v2
	v_cmp_eq_u32_e32 vcc, 0, v2
	s_and_saveexec_b64 s[10:11], vcc
	s_cbranch_execz .LBB5_259
; %bb.258:
	s_bcnt1_i32_b64 s8, s[8:9]
	v_mov_b32_e32 v2, s8
	s_waitcnt vmcnt(0)
	global_atomic_add_x2 v[0:1], v[2:3], off offset:8
.LBB5_259:
	s_or_b64 exec, exec, s[10:11]
	s_waitcnt vmcnt(0)
	global_load_dwordx2 v[2:3], v[0:1], off offset:16
	s_waitcnt vmcnt(0)
	v_cmp_eq_u64_e32 vcc, 0, v[2:3]
	s_cbranch_vccnz .LBB5_261
; %bb.260:
	global_load_dword v0, v[0:1], off offset:24
	v_mov_b32_e32 v1, 0
	s_waitcnt vmcnt(0)
	v_readfirstlane_b32 s8, v0
	s_and_b32 m0, s8, 0xffffff
	global_store_dwordx2 v[2:3], v[0:1], off
	s_sendmsg sendmsg(MSG_INTERRUPT)
.LBB5_261:
	s_or_b64 exec, exec, s[6:7]
	s_branch .LBB5_265
.LBB5_262:                              ;   in Loop: Header=BB5_265 Depth=1
	s_or_b64 exec, exec, s[6:7]
	v_readfirstlane_b32 s6, v0
	s_cmp_eq_u32 s6, 0
	s_cbranch_scc1 .LBB5_264
; %bb.263:                              ;   in Loop: Header=BB5_265 Depth=1
	s_sleep 1
	s_cbranch_execnz .LBB5_265
	s_branch .LBB5_267
.LBB5_264:
	s_branch .LBB5_267
.LBB5_265:                              ; =>This Inner Loop Header: Depth=1
	v_mov_b32_e32 v0, 1
	s_and_saveexec_b64 s[6:7], s[0:1]
	s_cbranch_execz .LBB5_262
; %bb.266:                              ;   in Loop: Header=BB5_265 Depth=1
	global_load_dword v0, v[8:9], off offset:20 glc
	s_waitcnt vmcnt(0)
	buffer_wbinvl1_vol
	v_and_b32_e32 v0, 1, v0
	s_branch .LBB5_262
.LBB5_267:
	global_load_dwordx2 v[0:1], v[10:11], off
	s_and_saveexec_b64 s[6:7], s[0:1]
	s_cbranch_execz .LBB5_270
; %bb.268:
	v_mov_b32_e32 v8, 0
	global_load_dwordx2 v[2:3], v8, s[2:3] offset:40
	global_load_dwordx2 v[11:12], v8, s[2:3] offset:24 glc
	global_load_dwordx2 v[4:5], v8, s[2:3]
	s_waitcnt vmcnt(2)
	v_readfirstlane_b32 s8, v2
	v_readfirstlane_b32 s9, v3
	s_add_u32 s10, s8, 1
	s_addc_u32 s11, s9, 0
	s_add_u32 s0, s10, s4
	s_addc_u32 s1, s11, s5
	s_cmp_eq_u64 s[0:1], 0
	s_cselect_b32 s1, s11, s1
	s_cselect_b32 s0, s10, s0
	s_and_b64 s[4:5], s[0:1], s[8:9]
	s_mul_i32 s5, s5, 24
	s_mul_hi_u32 s8, s4, 24
	s_mul_i32 s4, s4, 24
	s_add_i32 s5, s8, s5
	v_mov_b32_e32 v2, s5
	s_waitcnt vmcnt(0)
	v_add_co_u32_e32 v6, vcc, s4, v4
	v_addc_co_u32_e32 v7, vcc, v5, v2, vcc
	v_mov_b32_e32 v9, s0
	global_store_dwordx2 v[6:7], v[11:12], off
	v_mov_b32_e32 v10, s1
	s_waitcnt vmcnt(0)
	global_atomic_cmpswap_x2 v[4:5], v8, v[9:12], s[2:3] offset:24 glc
	s_mov_b64 s[4:5], 0
	s_waitcnt vmcnt(0)
	v_cmp_ne_u64_e32 vcc, v[4:5], v[11:12]
	s_and_b64 exec, exec, vcc
	s_cbranch_execz .LBB5_270
.LBB5_269:                              ; =>This Inner Loop Header: Depth=1
	s_sleep 1
	global_store_dwordx2 v[6:7], v[4:5], off
	v_mov_b32_e32 v2, s0
	v_mov_b32_e32 v3, s1
	s_waitcnt vmcnt(0)
	global_atomic_cmpswap_x2 v[2:3], v8, v[2:5], s[2:3] offset:24 glc
	s_waitcnt vmcnt(0)
	v_cmp_eq_u64_e32 vcc, v[2:3], v[4:5]
	v_mov_b32_e32 v5, v3
	s_or_b64 s[4:5], vcc, s[4:5]
	v_mov_b32_e32 v4, v2
	s_andn2_b64 exec, exec, s[4:5]
	s_cbranch_execnz .LBB5_269
.LBB5_270:
	s_or_b64 exec, exec, s[6:7]
.LBB5_271:
	s_getpc_b64 s[4:5]
	s_add_u32 s4, s4, __FUNCTION__._ZN9rocsparseL39csr2csr_compress_fill_warp_start_deviceILj256ELj32ELj2EfEEviPKT2_PjS1_@rel32@lo+4
	s_addc_u32 s5, s5, __FUNCTION__._ZN9rocsparseL39csr2csr_compress_fill_warp_start_deviceILj256ELj32ELj2EfEEviPKT2_PjS1_@rel32@hi+12
	s_cmp_lg_u64 s[4:5], 0
	s_cbranch_scc0 .LBB5_356
; %bb.272:
	s_waitcnt vmcnt(0)
	v_and_b32_e32 v29, 2, v0
	v_mov_b32_e32 v26, 0
	v_and_b32_e32 v2, -3, v0
	v_mov_b32_e32 v3, v1
	s_mov_b64 s[6:7], 40
	v_mov_b32_e32 v8, 2
	v_mov_b32_e32 v9, 1
	s_branch .LBB5_274
.LBB5_273:                              ;   in Loop: Header=BB5_274 Depth=1
	s_or_b64 exec, exec, s[12:13]
	s_sub_u32 s6, s6, s8
	s_subb_u32 s7, s7, s9
	s_add_u32 s4, s4, s8
	s_addc_u32 s5, s5, s9
	s_cmp_lg_u64 s[6:7], 0
	s_cbranch_scc0 .LBB5_357
.LBB5_274:                              ; =>This Loop Header: Depth=1
                                        ;     Child Loop BB5_277 Depth 2
                                        ;     Child Loop BB5_285 Depth 2
	;; [unrolled: 1-line block ×11, first 2 shown]
	v_cmp_lt_u64_e64 s[0:1], s[6:7], 56
	v_cmp_gt_u64_e64 s[10:11], s[6:7], 7
	s_and_b64 s[0:1], s[0:1], exec
	s_cselect_b32 s9, s7, 0
	s_cselect_b32 s8, s6, 56
	s_add_u32 s0, s4, 8
	s_addc_u32 s1, s5, 0
	s_and_b64 vcc, exec, s[10:11]
	s_cbranch_vccnz .LBB5_278
; %bb.275:                              ;   in Loop: Header=BB5_274 Depth=1
	s_cmp_eq_u64 s[6:7], 0
	s_cbranch_scc1 .LBB5_279
; %bb.276:                              ;   in Loop: Header=BB5_274 Depth=1
	v_mov_b32_e32 v4, 0
	s_lshl_b64 s[0:1], s[8:9], 3
	s_mov_b64 s[10:11], 0
	v_mov_b32_e32 v5, 0
	s_mov_b64 s[12:13], s[4:5]
.LBB5_277:                              ;   Parent Loop BB5_274 Depth=1
                                        ; =>  This Inner Loop Header: Depth=2
	global_load_ubyte v6, v26, s[12:13]
	s_waitcnt vmcnt(0)
	v_and_b32_e32 v25, 0xffff, v6
	v_lshlrev_b64 v[6:7], s10, v[25:26]
	s_add_u32 s10, s10, 8
	s_addc_u32 s11, s11, 0
	s_add_u32 s12, s12, 1
	s_addc_u32 s13, s13, 0
	v_or_b32_e32 v4, v6, v4
	s_cmp_lg_u32 s0, s10
	v_or_b32_e32 v5, v7, v5
	s_cbranch_scc1 .LBB5_277
	s_branch .LBB5_280
.LBB5_278:                              ;   in Loop: Header=BB5_274 Depth=1
	s_mov_b32 s14, 0
	s_branch .LBB5_281
.LBB5_279:                              ;   in Loop: Header=BB5_274 Depth=1
	v_mov_b32_e32 v4, 0
	v_mov_b32_e32 v5, 0
.LBB5_280:                              ;   in Loop: Header=BB5_274 Depth=1
	s_mov_b64 s[0:1], s[4:5]
	s_mov_b32 s14, 0
	s_cbranch_execnz .LBB5_282
.LBB5_281:                              ;   in Loop: Header=BB5_274 Depth=1
	global_load_dwordx2 v[4:5], v26, s[4:5]
	s_add_i32 s14, s8, -8
.LBB5_282:                              ;   in Loop: Header=BB5_274 Depth=1
	s_add_u32 s10, s0, 8
	s_addc_u32 s11, s1, 0
	s_cmp_gt_u32 s14, 7
	s_cbranch_scc1 .LBB5_286
; %bb.283:                              ;   in Loop: Header=BB5_274 Depth=1
	s_cmp_eq_u32 s14, 0
	s_cbranch_scc1 .LBB5_287
; %bb.284:                              ;   in Loop: Header=BB5_274 Depth=1
	v_mov_b32_e32 v10, 0
	s_mov_b64 s[10:11], 0
	v_mov_b32_e32 v11, 0
	s_mov_b64 s[12:13], 0
.LBB5_285:                              ;   Parent Loop BB5_274 Depth=1
                                        ; =>  This Inner Loop Header: Depth=2
	s_add_u32 s16, s0, s12
	s_addc_u32 s17, s1, s13
	global_load_ubyte v6, v26, s[16:17]
	s_add_u32 s12, s12, 1
	s_addc_u32 s13, s13, 0
	s_waitcnt vmcnt(0)
	v_and_b32_e32 v25, 0xffff, v6
	v_lshlrev_b64 v[6:7], s10, v[25:26]
	s_add_u32 s10, s10, 8
	s_addc_u32 s11, s11, 0
	v_or_b32_e32 v10, v6, v10
	s_cmp_lg_u32 s14, s12
	v_or_b32_e32 v11, v7, v11
	s_cbranch_scc1 .LBB5_285
	s_branch .LBB5_288
.LBB5_286:                              ;   in Loop: Header=BB5_274 Depth=1
                                        ; implicit-def: $vgpr10_vgpr11
	s_mov_b32 s15, 0
	s_branch .LBB5_289
.LBB5_287:                              ;   in Loop: Header=BB5_274 Depth=1
	v_mov_b32_e32 v10, 0
	v_mov_b32_e32 v11, 0
.LBB5_288:                              ;   in Loop: Header=BB5_274 Depth=1
	s_mov_b64 s[10:11], s[0:1]
	s_mov_b32 s15, 0
	s_cbranch_execnz .LBB5_290
.LBB5_289:                              ;   in Loop: Header=BB5_274 Depth=1
	global_load_dwordx2 v[10:11], v26, s[0:1]
	s_add_i32 s15, s14, -8
.LBB5_290:                              ;   in Loop: Header=BB5_274 Depth=1
	s_add_u32 s0, s10, 8
	s_addc_u32 s1, s11, 0
	s_cmp_gt_u32 s15, 7
	s_cbranch_scc1 .LBB5_294
; %bb.291:                              ;   in Loop: Header=BB5_274 Depth=1
	s_cmp_eq_u32 s15, 0
	s_cbranch_scc1 .LBB5_295
; %bb.292:                              ;   in Loop: Header=BB5_274 Depth=1
	v_mov_b32_e32 v12, 0
	s_mov_b64 s[0:1], 0
	v_mov_b32_e32 v13, 0
	s_mov_b64 s[12:13], 0
.LBB5_293:                              ;   Parent Loop BB5_274 Depth=1
                                        ; =>  This Inner Loop Header: Depth=2
	s_add_u32 s16, s10, s12
	s_addc_u32 s17, s11, s13
	global_load_ubyte v6, v26, s[16:17]
	s_add_u32 s12, s12, 1
	s_addc_u32 s13, s13, 0
	s_waitcnt vmcnt(0)
	v_and_b32_e32 v25, 0xffff, v6
	v_lshlrev_b64 v[6:7], s0, v[25:26]
	s_add_u32 s0, s0, 8
	s_addc_u32 s1, s1, 0
	v_or_b32_e32 v12, v6, v12
	s_cmp_lg_u32 s15, s12
	v_or_b32_e32 v13, v7, v13
	s_cbranch_scc1 .LBB5_293
	s_branch .LBB5_296
.LBB5_294:                              ;   in Loop: Header=BB5_274 Depth=1
	s_mov_b32 s14, 0
	s_branch .LBB5_297
.LBB5_295:                              ;   in Loop: Header=BB5_274 Depth=1
	v_mov_b32_e32 v12, 0
	v_mov_b32_e32 v13, 0
.LBB5_296:                              ;   in Loop: Header=BB5_274 Depth=1
	s_mov_b64 s[0:1], s[10:11]
	s_mov_b32 s14, 0
	s_cbranch_execnz .LBB5_298
.LBB5_297:                              ;   in Loop: Header=BB5_274 Depth=1
	global_load_dwordx2 v[12:13], v26, s[10:11]
	s_add_i32 s14, s15, -8
.LBB5_298:                              ;   in Loop: Header=BB5_274 Depth=1
	s_add_u32 s10, s0, 8
	s_addc_u32 s11, s1, 0
	s_cmp_gt_u32 s14, 7
	s_cbranch_scc1 .LBB5_302
; %bb.299:                              ;   in Loop: Header=BB5_274 Depth=1
	s_cmp_eq_u32 s14, 0
	s_cbranch_scc1 .LBB5_303
; %bb.300:                              ;   in Loop: Header=BB5_274 Depth=1
	v_mov_b32_e32 v14, 0
	s_mov_b64 s[10:11], 0
	v_mov_b32_e32 v15, 0
	s_mov_b64 s[12:13], 0
.LBB5_301:                              ;   Parent Loop BB5_274 Depth=1
                                        ; =>  This Inner Loop Header: Depth=2
	s_add_u32 s16, s0, s12
	s_addc_u32 s17, s1, s13
	global_load_ubyte v6, v26, s[16:17]
	s_add_u32 s12, s12, 1
	s_addc_u32 s13, s13, 0
	s_waitcnt vmcnt(0)
	v_and_b32_e32 v25, 0xffff, v6
	v_lshlrev_b64 v[6:7], s10, v[25:26]
	s_add_u32 s10, s10, 8
	s_addc_u32 s11, s11, 0
	v_or_b32_e32 v14, v6, v14
	s_cmp_lg_u32 s14, s12
	v_or_b32_e32 v15, v7, v15
	s_cbranch_scc1 .LBB5_301
	s_branch .LBB5_304
.LBB5_302:                              ;   in Loop: Header=BB5_274 Depth=1
                                        ; implicit-def: $vgpr14_vgpr15
	s_mov_b32 s15, 0
	s_branch .LBB5_305
.LBB5_303:                              ;   in Loop: Header=BB5_274 Depth=1
	v_mov_b32_e32 v14, 0
	v_mov_b32_e32 v15, 0
.LBB5_304:                              ;   in Loop: Header=BB5_274 Depth=1
	s_mov_b64 s[10:11], s[0:1]
	s_mov_b32 s15, 0
	s_cbranch_execnz .LBB5_306
.LBB5_305:                              ;   in Loop: Header=BB5_274 Depth=1
	global_load_dwordx2 v[14:15], v26, s[0:1]
	s_add_i32 s15, s14, -8
.LBB5_306:                              ;   in Loop: Header=BB5_274 Depth=1
	s_add_u32 s0, s10, 8
	s_addc_u32 s1, s11, 0
	s_cmp_gt_u32 s15, 7
	s_cbranch_scc1 .LBB5_310
; %bb.307:                              ;   in Loop: Header=BB5_274 Depth=1
	s_cmp_eq_u32 s15, 0
	s_cbranch_scc1 .LBB5_311
; %bb.308:                              ;   in Loop: Header=BB5_274 Depth=1
	v_mov_b32_e32 v16, 0
	s_mov_b64 s[0:1], 0
	v_mov_b32_e32 v17, 0
	s_mov_b64 s[12:13], 0
.LBB5_309:                              ;   Parent Loop BB5_274 Depth=1
                                        ; =>  This Inner Loop Header: Depth=2
	s_add_u32 s16, s10, s12
	s_addc_u32 s17, s11, s13
	global_load_ubyte v6, v26, s[16:17]
	s_add_u32 s12, s12, 1
	s_addc_u32 s13, s13, 0
	s_waitcnt vmcnt(0)
	v_and_b32_e32 v25, 0xffff, v6
	v_lshlrev_b64 v[6:7], s0, v[25:26]
	s_add_u32 s0, s0, 8
	s_addc_u32 s1, s1, 0
	v_or_b32_e32 v16, v6, v16
	s_cmp_lg_u32 s15, s12
	v_or_b32_e32 v17, v7, v17
	s_cbranch_scc1 .LBB5_309
	s_branch .LBB5_312
.LBB5_310:                              ;   in Loop: Header=BB5_274 Depth=1
	s_mov_b32 s14, 0
	s_branch .LBB5_313
.LBB5_311:                              ;   in Loop: Header=BB5_274 Depth=1
	v_mov_b32_e32 v16, 0
	v_mov_b32_e32 v17, 0
.LBB5_312:                              ;   in Loop: Header=BB5_274 Depth=1
	s_mov_b64 s[0:1], s[10:11]
	s_mov_b32 s14, 0
	s_cbranch_execnz .LBB5_314
.LBB5_313:                              ;   in Loop: Header=BB5_274 Depth=1
	global_load_dwordx2 v[16:17], v26, s[10:11]
	s_add_i32 s14, s15, -8
.LBB5_314:                              ;   in Loop: Header=BB5_274 Depth=1
	s_add_u32 s10, s0, 8
	s_addc_u32 s11, s1, 0
	s_cmp_gt_u32 s14, 7
	s_cbranch_scc1 .LBB5_318
; %bb.315:                              ;   in Loop: Header=BB5_274 Depth=1
	s_cmp_eq_u32 s14, 0
	s_cbranch_scc1 .LBB5_319
; %bb.316:                              ;   in Loop: Header=BB5_274 Depth=1
	v_mov_b32_e32 v18, 0
	s_mov_b64 s[10:11], 0
	v_mov_b32_e32 v19, 0
	s_mov_b64 s[12:13], 0
.LBB5_317:                              ;   Parent Loop BB5_274 Depth=1
                                        ; =>  This Inner Loop Header: Depth=2
	s_add_u32 s16, s0, s12
	s_addc_u32 s17, s1, s13
	global_load_ubyte v6, v26, s[16:17]
	s_add_u32 s12, s12, 1
	s_addc_u32 s13, s13, 0
	s_waitcnt vmcnt(0)
	v_and_b32_e32 v25, 0xffff, v6
	v_lshlrev_b64 v[6:7], s10, v[25:26]
	s_add_u32 s10, s10, 8
	s_addc_u32 s11, s11, 0
	v_or_b32_e32 v18, v6, v18
	s_cmp_lg_u32 s14, s12
	v_or_b32_e32 v19, v7, v19
	s_cbranch_scc1 .LBB5_317
	s_branch .LBB5_320
.LBB5_318:                              ;   in Loop: Header=BB5_274 Depth=1
                                        ; implicit-def: $vgpr18_vgpr19
	s_mov_b32 s15, 0
	s_branch .LBB5_321
.LBB5_319:                              ;   in Loop: Header=BB5_274 Depth=1
	v_mov_b32_e32 v18, 0
	v_mov_b32_e32 v19, 0
.LBB5_320:                              ;   in Loop: Header=BB5_274 Depth=1
	s_mov_b64 s[10:11], s[0:1]
	s_mov_b32 s15, 0
	s_cbranch_execnz .LBB5_322
.LBB5_321:                              ;   in Loop: Header=BB5_274 Depth=1
	global_load_dwordx2 v[18:19], v26, s[0:1]
	s_add_i32 s15, s14, -8
.LBB5_322:                              ;   in Loop: Header=BB5_274 Depth=1
	s_cmp_gt_u32 s15, 7
	s_cbranch_scc1 .LBB5_326
; %bb.323:                              ;   in Loop: Header=BB5_274 Depth=1
	s_cmp_eq_u32 s15, 0
	s_cbranch_scc1 .LBB5_327
; %bb.324:                              ;   in Loop: Header=BB5_274 Depth=1
	v_mov_b32_e32 v20, 0
	s_mov_b64 s[0:1], 0
	v_mov_b32_e32 v21, 0
	s_mov_b64 s[12:13], s[10:11]
.LBB5_325:                              ;   Parent Loop BB5_274 Depth=1
                                        ; =>  This Inner Loop Header: Depth=2
	global_load_ubyte v6, v26, s[12:13]
	s_add_i32 s15, s15, -1
	s_waitcnt vmcnt(0)
	v_and_b32_e32 v25, 0xffff, v6
	v_lshlrev_b64 v[6:7], s0, v[25:26]
	s_add_u32 s0, s0, 8
	s_addc_u32 s1, s1, 0
	s_add_u32 s12, s12, 1
	s_addc_u32 s13, s13, 0
	v_or_b32_e32 v20, v6, v20
	s_cmp_lg_u32 s15, 0
	v_or_b32_e32 v21, v7, v21
	s_cbranch_scc1 .LBB5_325
	s_branch .LBB5_328
.LBB5_326:                              ;   in Loop: Header=BB5_274 Depth=1
	s_branch .LBB5_329
.LBB5_327:                              ;   in Loop: Header=BB5_274 Depth=1
	v_mov_b32_e32 v20, 0
	v_mov_b32_e32 v21, 0
.LBB5_328:                              ;   in Loop: Header=BB5_274 Depth=1
	s_cbranch_execnz .LBB5_330
.LBB5_329:                              ;   in Loop: Header=BB5_274 Depth=1
	global_load_dwordx2 v[20:21], v26, s[10:11]
.LBB5_330:                              ;   in Loop: Header=BB5_274 Depth=1
	v_readfirstlane_b32 s0, v32
	v_mov_b32_e32 v6, 0
	v_mov_b32_e32 v7, 0
	v_cmp_eq_u32_e64 s[0:1], s0, v32
	s_and_saveexec_b64 s[10:11], s[0:1]
	s_cbranch_execz .LBB5_336
; %bb.331:                              ;   in Loop: Header=BB5_274 Depth=1
	global_load_dwordx2 v[24:25], v26, s[2:3] offset:24 glc
	s_waitcnt vmcnt(0)
	buffer_wbinvl1_vol
	global_load_dwordx2 v[6:7], v26, s[2:3] offset:40
	global_load_dwordx2 v[22:23], v26, s[2:3]
	s_waitcnt vmcnt(1)
	v_and_b32_e32 v6, v6, v24
	v_and_b32_e32 v7, v7, v25
	v_mul_lo_u32 v7, v7, 24
	v_mul_hi_u32 v27, v6, 24
	v_mul_lo_u32 v6, v6, 24
	v_add_u32_e32 v7, v27, v7
	s_waitcnt vmcnt(0)
	v_add_co_u32_e32 v6, vcc, v22, v6
	v_addc_co_u32_e32 v7, vcc, v23, v7, vcc
	global_load_dwordx2 v[22:23], v[6:7], off glc
	s_waitcnt vmcnt(0)
	global_atomic_cmpswap_x2 v[6:7], v26, v[22:25], s[2:3] offset:24 glc
	s_waitcnt vmcnt(0)
	buffer_wbinvl1_vol
	v_cmp_ne_u64_e32 vcc, v[6:7], v[24:25]
	s_and_saveexec_b64 s[12:13], vcc
	s_cbranch_execz .LBB5_335
; %bb.332:                              ;   in Loop: Header=BB5_274 Depth=1
	s_mov_b64 s[14:15], 0
.LBB5_333:                              ;   Parent Loop BB5_274 Depth=1
                                        ; =>  This Inner Loop Header: Depth=2
	s_sleep 1
	global_load_dwordx2 v[22:23], v26, s[2:3] offset:40
	global_load_dwordx2 v[27:28], v26, s[2:3]
	v_mov_b32_e32 v25, v7
	v_mov_b32_e32 v24, v6
	s_waitcnt vmcnt(1)
	v_and_b32_e32 v6, v22, v24
	s_waitcnt vmcnt(0)
	v_mad_u64_u32 v[6:7], s[16:17], v6, 24, v[27:28]
	v_and_b32_e32 v22, v23, v25
	v_mad_u64_u32 v[22:23], s[16:17], v22, 24, v[7:8]
	v_mov_b32_e32 v7, v22
	global_load_dwordx2 v[22:23], v[6:7], off glc
	s_waitcnt vmcnt(0)
	global_atomic_cmpswap_x2 v[6:7], v26, v[22:25], s[2:3] offset:24 glc
	s_waitcnt vmcnt(0)
	buffer_wbinvl1_vol
	v_cmp_eq_u64_e32 vcc, v[6:7], v[24:25]
	s_or_b64 s[14:15], vcc, s[14:15]
	s_andn2_b64 exec, exec, s[14:15]
	s_cbranch_execnz .LBB5_333
; %bb.334:                              ;   in Loop: Header=BB5_274 Depth=1
	s_or_b64 exec, exec, s[14:15]
.LBB5_335:                              ;   in Loop: Header=BB5_274 Depth=1
	s_or_b64 exec, exec, s[12:13]
.LBB5_336:                              ;   in Loop: Header=BB5_274 Depth=1
	s_or_b64 exec, exec, s[10:11]
	global_load_dwordx2 v[27:28], v26, s[2:3] offset:40
	global_load_dwordx4 v[22:25], v26, s[2:3]
	v_readfirstlane_b32 s11, v7
	v_readfirstlane_b32 s10, v6
	s_mov_b64 s[12:13], exec
	s_waitcnt vmcnt(1)
	v_readfirstlane_b32 s14, v27
	v_readfirstlane_b32 s15, v28
	s_and_b64 s[14:15], s[14:15], s[10:11]
	s_mul_i32 s16, s15, 24
	s_mul_hi_u32 s17, s14, 24
	s_mul_i32 s18, s14, 24
	s_add_i32 s16, s17, s16
	v_mov_b32_e32 v6, s16
	s_waitcnt vmcnt(0)
	v_add_co_u32_e32 v27, vcc, s18, v22
	v_addc_co_u32_e32 v28, vcc, v23, v6, vcc
	s_and_saveexec_b64 s[16:17], s[0:1]
	s_cbranch_execz .LBB5_338
; %bb.337:                              ;   in Loop: Header=BB5_274 Depth=1
	v_mov_b32_e32 v6, s12
	v_mov_b32_e32 v7, s13
	global_store_dwordx4 v[27:28], v[6:9], off offset:8
.LBB5_338:                              ;   in Loop: Header=BB5_274 Depth=1
	s_or_b64 exec, exec, s[16:17]
	s_lshl_b64 s[12:13], s[14:15], 12
	v_mov_b32_e32 v6, s13
	v_add_co_u32_e32 v24, vcc, s12, v24
	v_addc_co_u32_e32 v30, vcc, v25, v6, vcc
	v_cmp_lt_u64_e64 vcc, s[6:7], 57
	s_lshl_b32 s12, s8, 2
	v_cndmask_b32_e32 v6, 0, v29, vcc
	s_add_i32 s12, s12, 28
	v_and_b32_e32 v2, 0xffffff1f, v2
	s_and_b32 s12, s12, 0x1e0
	v_or_b32_e32 v2, v2, v6
	v_or_b32_e32 v2, s12, v2
	v_readfirstlane_b32 s12, v24
	v_readfirstlane_b32 s13, v30
	s_nop 4
	global_store_dwordx4 v31, v[2:5], s[12:13]
	global_store_dwordx4 v31, v[10:13], s[12:13] offset:16
	global_store_dwordx4 v31, v[14:17], s[12:13] offset:32
	;; [unrolled: 1-line block ×3, first 2 shown]
	s_and_saveexec_b64 s[12:13], s[0:1]
	s_cbranch_execz .LBB5_346
; %bb.339:                              ;   in Loop: Header=BB5_274 Depth=1
	global_load_dwordx2 v[12:13], v26, s[2:3] offset:32 glc
	global_load_dwordx2 v[2:3], v26, s[2:3] offset:40
	v_mov_b32_e32 v10, s10
	v_mov_b32_e32 v11, s11
	s_waitcnt vmcnt(0)
	v_readfirstlane_b32 s14, v2
	v_readfirstlane_b32 s15, v3
	s_and_b64 s[14:15], s[14:15], s[10:11]
	s_mul_i32 s15, s15, 24
	s_mul_hi_u32 s16, s14, 24
	s_mul_i32 s14, s14, 24
	s_add_i32 s15, s16, s15
	v_mov_b32_e32 v2, s15
	v_add_co_u32_e32 v6, vcc, s14, v22
	v_addc_co_u32_e32 v7, vcc, v23, v2, vcc
	global_store_dwordx2 v[6:7], v[12:13], off
	s_waitcnt vmcnt(0)
	global_atomic_cmpswap_x2 v[4:5], v26, v[10:13], s[2:3] offset:32 glc
	s_waitcnt vmcnt(0)
	v_cmp_ne_u64_e32 vcc, v[4:5], v[12:13]
	s_and_saveexec_b64 s[14:15], vcc
	s_cbranch_execz .LBB5_342
; %bb.340:                              ;   in Loop: Header=BB5_274 Depth=1
	s_mov_b64 s[16:17], 0
.LBB5_341:                              ;   Parent Loop BB5_274 Depth=1
                                        ; =>  This Inner Loop Header: Depth=2
	s_sleep 1
	global_store_dwordx2 v[6:7], v[4:5], off
	v_mov_b32_e32 v2, s10
	v_mov_b32_e32 v3, s11
	s_waitcnt vmcnt(0)
	global_atomic_cmpswap_x2 v[2:3], v26, v[2:5], s[2:3] offset:32 glc
	s_waitcnt vmcnt(0)
	v_cmp_eq_u64_e32 vcc, v[2:3], v[4:5]
	v_mov_b32_e32 v5, v3
	s_or_b64 s[16:17], vcc, s[16:17]
	v_mov_b32_e32 v4, v2
	s_andn2_b64 exec, exec, s[16:17]
	s_cbranch_execnz .LBB5_341
.LBB5_342:                              ;   in Loop: Header=BB5_274 Depth=1
	s_or_b64 exec, exec, s[14:15]
	global_load_dwordx2 v[2:3], v26, s[2:3] offset:16
	s_mov_b64 s[16:17], exec
	v_mbcnt_lo_u32_b32 v4, s16, 0
	v_mbcnt_hi_u32_b32 v4, s17, v4
	v_cmp_eq_u32_e32 vcc, 0, v4
	s_and_saveexec_b64 s[14:15], vcc
	s_cbranch_execz .LBB5_344
; %bb.343:                              ;   in Loop: Header=BB5_274 Depth=1
	s_bcnt1_i32_b64 s16, s[16:17]
	v_mov_b32_e32 v25, s16
	s_waitcnt vmcnt(0)
	global_atomic_add_x2 v[2:3], v[25:26], off offset:8
.LBB5_344:                              ;   in Loop: Header=BB5_274 Depth=1
	s_or_b64 exec, exec, s[14:15]
	s_waitcnt vmcnt(0)
	global_load_dwordx2 v[4:5], v[2:3], off offset:16
	s_waitcnt vmcnt(0)
	v_cmp_eq_u64_e32 vcc, 0, v[4:5]
	s_cbranch_vccnz .LBB5_346
; %bb.345:                              ;   in Loop: Header=BB5_274 Depth=1
	global_load_dword v25, v[2:3], off offset:24
	s_waitcnt vmcnt(0)
	v_readfirstlane_b32 s14, v25
	s_and_b32 m0, s14, 0xffffff
	global_store_dwordx2 v[4:5], v[25:26], off
	s_sendmsg sendmsg(MSG_INTERRUPT)
.LBB5_346:                              ;   in Loop: Header=BB5_274 Depth=1
	s_or_b64 exec, exec, s[12:13]
	v_add_co_u32_e32 v2, vcc, v24, v31
	v_addc_co_u32_e32 v3, vcc, 0, v30, vcc
	s_branch .LBB5_350
.LBB5_347:                              ;   in Loop: Header=BB5_350 Depth=2
	s_or_b64 exec, exec, s[12:13]
	v_readfirstlane_b32 s12, v4
	s_cmp_eq_u32 s12, 0
	s_cbranch_scc1 .LBB5_349
; %bb.348:                              ;   in Loop: Header=BB5_350 Depth=2
	s_sleep 1
	s_cbranch_execnz .LBB5_350
	s_branch .LBB5_352
.LBB5_349:                              ;   in Loop: Header=BB5_274 Depth=1
	s_branch .LBB5_352
.LBB5_350:                              ;   Parent Loop BB5_274 Depth=1
                                        ; =>  This Inner Loop Header: Depth=2
	v_mov_b32_e32 v4, 1
	s_and_saveexec_b64 s[12:13], s[0:1]
	s_cbranch_execz .LBB5_347
; %bb.351:                              ;   in Loop: Header=BB5_350 Depth=2
	global_load_dword v4, v[27:28], off offset:20 glc
	s_waitcnt vmcnt(0)
	buffer_wbinvl1_vol
	v_and_b32_e32 v4, 1, v4
	s_branch .LBB5_347
.LBB5_352:                              ;   in Loop: Header=BB5_274 Depth=1
	global_load_dwordx2 v[2:3], v[2:3], off
	s_and_saveexec_b64 s[12:13], s[0:1]
	s_cbranch_execz .LBB5_273
; %bb.353:                              ;   in Loop: Header=BB5_274 Depth=1
	global_load_dwordx2 v[4:5], v26, s[2:3] offset:40
	global_load_dwordx2 v[14:15], v26, s[2:3] offset:24 glc
	global_load_dwordx2 v[6:7], v26, s[2:3]
	s_waitcnt vmcnt(2)
	v_readfirstlane_b32 s14, v4
	v_readfirstlane_b32 s15, v5
	s_add_u32 s16, s14, 1
	s_addc_u32 s17, s15, 0
	s_add_u32 s0, s16, s10
	s_addc_u32 s1, s17, s11
	s_cmp_eq_u64 s[0:1], 0
	s_cselect_b32 s1, s17, s1
	s_cselect_b32 s0, s16, s0
	s_and_b64 s[10:11], s[0:1], s[14:15]
	s_mul_i32 s11, s11, 24
	s_mul_hi_u32 s14, s10, 24
	s_mul_i32 s10, s10, 24
	s_add_i32 s11, s14, s11
	v_mov_b32_e32 v4, s11
	s_waitcnt vmcnt(0)
	v_add_co_u32_e32 v10, vcc, s10, v6
	v_addc_co_u32_e32 v11, vcc, v7, v4, vcc
	v_mov_b32_e32 v12, s0
	global_store_dwordx2 v[10:11], v[14:15], off
	v_mov_b32_e32 v13, s1
	s_waitcnt vmcnt(0)
	global_atomic_cmpswap_x2 v[6:7], v26, v[12:15], s[2:3] offset:24 glc
	s_waitcnt vmcnt(0)
	v_cmp_ne_u64_e32 vcc, v[6:7], v[14:15]
	s_and_b64 exec, exec, vcc
	s_cbranch_execz .LBB5_273
; %bb.354:                              ;   in Loop: Header=BB5_274 Depth=1
	s_mov_b64 s[10:11], 0
.LBB5_355:                              ;   Parent Loop BB5_274 Depth=1
                                        ; =>  This Inner Loop Header: Depth=2
	s_sleep 1
	global_store_dwordx2 v[10:11], v[6:7], off
	v_mov_b32_e32 v4, s0
	v_mov_b32_e32 v5, s1
	s_waitcnt vmcnt(0)
	global_atomic_cmpswap_x2 v[4:5], v26, v[4:7], s[2:3] offset:24 glc
	s_waitcnt vmcnt(0)
	v_cmp_eq_u64_e32 vcc, v[4:5], v[6:7]
	v_mov_b32_e32 v7, v5
	s_or_b64 s[10:11], vcc, s[10:11]
	v_mov_b32_e32 v6, v4
	s_andn2_b64 exec, exec, s[10:11]
	s_cbranch_execnz .LBB5_355
	s_branch .LBB5_273
.LBB5_356:
	s_mov_b64 s[0:1], -1
                                        ; implicit-def: $vgpr2_vgpr3
	s_branch .LBB5_358
.LBB5_357:
	s_mov_b64 s[0:1], 0
.LBB5_358:
	s_and_b64 vcc, exec, s[0:1]
	s_cbranch_vccz .LBB5_385
; %bb.359:
	v_readfirstlane_b32 s0, v32
	v_mov_b32_e32 v8, 0
	v_mov_b32_e32 v9, 0
	v_cmp_eq_u32_e64 s[0:1], s0, v32
	s_and_saveexec_b64 s[4:5], s[0:1]
	s_cbranch_execz .LBB5_365
; %bb.360:
	s_waitcnt vmcnt(0)
	v_mov_b32_e32 v2, 0
	global_load_dwordx2 v[5:6], v2, s[2:3] offset:24 glc
	s_waitcnt vmcnt(0)
	buffer_wbinvl1_vol
	global_load_dwordx2 v[3:4], v2, s[2:3] offset:40
	global_load_dwordx2 v[7:8], v2, s[2:3]
	s_waitcnt vmcnt(1)
	v_and_b32_e32 v3, v3, v5
	v_and_b32_e32 v4, v4, v6
	v_mul_lo_u32 v4, v4, 24
	v_mul_hi_u32 v9, v3, 24
	v_mul_lo_u32 v3, v3, 24
	v_add_u32_e32 v4, v9, v4
	s_waitcnt vmcnt(0)
	v_add_co_u32_e32 v3, vcc, v7, v3
	v_addc_co_u32_e32 v4, vcc, v8, v4, vcc
	global_load_dwordx2 v[3:4], v[3:4], off glc
	s_waitcnt vmcnt(0)
	global_atomic_cmpswap_x2 v[8:9], v2, v[3:6], s[2:3] offset:24 glc
	s_waitcnt vmcnt(0)
	buffer_wbinvl1_vol
	v_cmp_ne_u64_e32 vcc, v[8:9], v[5:6]
	s_and_saveexec_b64 s[6:7], vcc
	s_cbranch_execz .LBB5_364
; %bb.361:
	s_mov_b64 s[8:9], 0
.LBB5_362:                              ; =>This Inner Loop Header: Depth=1
	s_sleep 1
	global_load_dwordx2 v[3:4], v2, s[2:3] offset:40
	global_load_dwordx2 v[10:11], v2, s[2:3]
	v_mov_b32_e32 v5, v8
	v_mov_b32_e32 v6, v9
	s_waitcnt vmcnt(1)
	v_and_b32_e32 v3, v3, v5
	s_waitcnt vmcnt(0)
	v_mad_u64_u32 v[7:8], s[10:11], v3, 24, v[10:11]
	v_and_b32_e32 v4, v4, v6
	v_mov_b32_e32 v3, v8
	v_mad_u64_u32 v[3:4], s[10:11], v4, 24, v[3:4]
	v_mov_b32_e32 v8, v3
	global_load_dwordx2 v[3:4], v[7:8], off glc
	s_waitcnt vmcnt(0)
	global_atomic_cmpswap_x2 v[8:9], v2, v[3:6], s[2:3] offset:24 glc
	s_waitcnt vmcnt(0)
	buffer_wbinvl1_vol
	v_cmp_eq_u64_e32 vcc, v[8:9], v[5:6]
	s_or_b64 s[8:9], vcc, s[8:9]
	s_andn2_b64 exec, exec, s[8:9]
	s_cbranch_execnz .LBB5_362
; %bb.363:
	s_or_b64 exec, exec, s[8:9]
.LBB5_364:
	s_or_b64 exec, exec, s[6:7]
.LBB5_365:
	s_or_b64 exec, exec, s[4:5]
	s_waitcnt vmcnt(0)
	v_mov_b32_e32 v2, 0
	global_load_dwordx2 v[10:11], v2, s[2:3] offset:40
	global_load_dwordx4 v[4:7], v2, s[2:3]
	v_readfirstlane_b32 s5, v9
	v_readfirstlane_b32 s4, v8
	s_mov_b64 s[6:7], exec
	s_waitcnt vmcnt(1)
	v_readfirstlane_b32 s8, v10
	v_readfirstlane_b32 s9, v11
	s_and_b64 s[8:9], s[8:9], s[4:5]
	s_mul_i32 s10, s9, 24
	s_mul_hi_u32 s11, s8, 24
	s_mul_i32 s12, s8, 24
	s_add_i32 s10, s11, s10
	v_mov_b32_e32 v3, s10
	s_waitcnt vmcnt(0)
	v_add_co_u32_e32 v8, vcc, s12, v4
	v_addc_co_u32_e32 v9, vcc, v5, v3, vcc
	s_and_saveexec_b64 s[10:11], s[0:1]
	s_cbranch_execz .LBB5_367
; %bb.366:
	v_mov_b32_e32 v11, s7
	v_mov_b32_e32 v10, s6
	;; [unrolled: 1-line block ×4, first 2 shown]
	global_store_dwordx4 v[8:9], v[10:13], off offset:8
.LBB5_367:
	s_or_b64 exec, exec, s[10:11]
	s_lshl_b64 s[6:7], s[8:9], 12
	v_mov_b32_e32 v3, s7
	v_add_co_u32_e32 v10, vcc, s6, v6
	v_addc_co_u32_e32 v11, vcc, v7, v3, vcc
	s_movk_i32 s6, 0xff1f
	v_and_or_b32 v0, v0, s6, 32
	s_mov_b32 s8, 0
	v_mov_b32_e32 v3, v2
	v_readfirstlane_b32 s6, v10
	v_readfirstlane_b32 s7, v11
	v_add_co_u32_e32 v6, vcc, v10, v31
	s_mov_b32 s9, s8
	s_mov_b32 s10, s8
	;; [unrolled: 1-line block ×3, first 2 shown]
	s_nop 0
	global_store_dwordx4 v31, v[0:3], s[6:7]
	v_addc_co_u32_e32 v7, vcc, 0, v11, vcc
	v_mov_b32_e32 v0, s8
	v_mov_b32_e32 v1, s9
	;; [unrolled: 1-line block ×4, first 2 shown]
	global_store_dwordx4 v31, v[0:3], s[6:7] offset:16
	global_store_dwordx4 v31, v[0:3], s[6:7] offset:32
	;; [unrolled: 1-line block ×3, first 2 shown]
	s_and_saveexec_b64 s[6:7], s[0:1]
	s_cbranch_execz .LBB5_375
; %bb.368:
	v_mov_b32_e32 v10, 0
	global_load_dwordx2 v[13:14], v10, s[2:3] offset:32 glc
	global_load_dwordx2 v[0:1], v10, s[2:3] offset:40
	v_mov_b32_e32 v11, s4
	v_mov_b32_e32 v12, s5
	s_waitcnt vmcnt(0)
	v_readfirstlane_b32 s8, v0
	v_readfirstlane_b32 s9, v1
	s_and_b64 s[8:9], s[8:9], s[4:5]
	s_mul_i32 s9, s9, 24
	s_mul_hi_u32 s10, s8, 24
	s_mul_i32 s8, s8, 24
	s_add_i32 s9, s10, s9
	v_mov_b32_e32 v0, s9
	v_add_co_u32_e32 v4, vcc, s8, v4
	v_addc_co_u32_e32 v5, vcc, v5, v0, vcc
	global_store_dwordx2 v[4:5], v[13:14], off
	s_waitcnt vmcnt(0)
	global_atomic_cmpswap_x2 v[2:3], v10, v[11:14], s[2:3] offset:32 glc
	s_waitcnt vmcnt(0)
	v_cmp_ne_u64_e32 vcc, v[2:3], v[13:14]
	s_and_saveexec_b64 s[8:9], vcc
	s_cbranch_execz .LBB5_371
; %bb.369:
	s_mov_b64 s[10:11], 0
.LBB5_370:                              ; =>This Inner Loop Header: Depth=1
	s_sleep 1
	global_store_dwordx2 v[4:5], v[2:3], off
	v_mov_b32_e32 v0, s4
	v_mov_b32_e32 v1, s5
	s_waitcnt vmcnt(0)
	global_atomic_cmpswap_x2 v[0:1], v10, v[0:3], s[2:3] offset:32 glc
	s_waitcnt vmcnt(0)
	v_cmp_eq_u64_e32 vcc, v[0:1], v[2:3]
	v_mov_b32_e32 v3, v1
	s_or_b64 s[10:11], vcc, s[10:11]
	v_mov_b32_e32 v2, v0
	s_andn2_b64 exec, exec, s[10:11]
	s_cbranch_execnz .LBB5_370
.LBB5_371:
	s_or_b64 exec, exec, s[8:9]
	v_mov_b32_e32 v3, 0
	global_load_dwordx2 v[0:1], v3, s[2:3] offset:16
	s_mov_b64 s[8:9], exec
	v_mbcnt_lo_u32_b32 v2, s8, 0
	v_mbcnt_hi_u32_b32 v2, s9, v2
	v_cmp_eq_u32_e32 vcc, 0, v2
	s_and_saveexec_b64 s[10:11], vcc
	s_cbranch_execz .LBB5_373
; %bb.372:
	s_bcnt1_i32_b64 s8, s[8:9]
	v_mov_b32_e32 v2, s8
	s_waitcnt vmcnt(0)
	global_atomic_add_x2 v[0:1], v[2:3], off offset:8
.LBB5_373:
	s_or_b64 exec, exec, s[10:11]
	s_waitcnt vmcnt(0)
	global_load_dwordx2 v[2:3], v[0:1], off offset:16
	s_waitcnt vmcnt(0)
	v_cmp_eq_u64_e32 vcc, 0, v[2:3]
	s_cbranch_vccnz .LBB5_375
; %bb.374:
	global_load_dword v0, v[0:1], off offset:24
	v_mov_b32_e32 v1, 0
	s_waitcnt vmcnt(0)
	v_readfirstlane_b32 s8, v0
	s_and_b32 m0, s8, 0xffffff
	global_store_dwordx2 v[2:3], v[0:1], off
	s_sendmsg sendmsg(MSG_INTERRUPT)
.LBB5_375:
	s_or_b64 exec, exec, s[6:7]
	s_branch .LBB5_379
.LBB5_376:                              ;   in Loop: Header=BB5_379 Depth=1
	s_or_b64 exec, exec, s[6:7]
	v_readfirstlane_b32 s6, v0
	s_cmp_eq_u32 s6, 0
	s_cbranch_scc1 .LBB5_378
; %bb.377:                              ;   in Loop: Header=BB5_379 Depth=1
	s_sleep 1
	s_cbranch_execnz .LBB5_379
	s_branch .LBB5_381
.LBB5_378:
	s_branch .LBB5_381
.LBB5_379:                              ; =>This Inner Loop Header: Depth=1
	v_mov_b32_e32 v0, 1
	s_and_saveexec_b64 s[6:7], s[0:1]
	s_cbranch_execz .LBB5_376
; %bb.380:                              ;   in Loop: Header=BB5_379 Depth=1
	global_load_dword v0, v[8:9], off offset:20 glc
	s_waitcnt vmcnt(0)
	buffer_wbinvl1_vol
	v_and_b32_e32 v0, 1, v0
	s_branch .LBB5_376
.LBB5_381:
	global_load_dwordx2 v[2:3], v[6:7], off
	s_and_saveexec_b64 s[6:7], s[0:1]
	s_cbranch_execz .LBB5_384
; %bb.382:
	v_mov_b32_e32 v8, 0
	global_load_dwordx2 v[0:1], v8, s[2:3] offset:40
	global_load_dwordx2 v[11:12], v8, s[2:3] offset:24 glc
	global_load_dwordx2 v[4:5], v8, s[2:3]
	s_waitcnt vmcnt(2)
	v_readfirstlane_b32 s8, v0
	v_readfirstlane_b32 s9, v1
	s_add_u32 s10, s8, 1
	s_addc_u32 s11, s9, 0
	s_add_u32 s0, s10, s4
	s_addc_u32 s1, s11, s5
	s_cmp_eq_u64 s[0:1], 0
	s_cselect_b32 s1, s11, s1
	s_cselect_b32 s0, s10, s0
	s_and_b64 s[4:5], s[0:1], s[8:9]
	s_mul_i32 s5, s5, 24
	s_mul_hi_u32 s8, s4, 24
	s_mul_i32 s4, s4, 24
	s_add_i32 s5, s8, s5
	v_mov_b32_e32 v1, s5
	s_waitcnt vmcnt(0)
	v_add_co_u32_e32 v0, vcc, s4, v4
	v_addc_co_u32_e32 v1, vcc, v5, v1, vcc
	v_mov_b32_e32 v9, s0
	global_store_dwordx2 v[0:1], v[11:12], off
	v_mov_b32_e32 v10, s1
	s_waitcnt vmcnt(0)
	global_atomic_cmpswap_x2 v[6:7], v8, v[9:12], s[2:3] offset:24 glc
	s_mov_b64 s[4:5], 0
	s_waitcnt vmcnt(0)
	v_cmp_ne_u64_e32 vcc, v[6:7], v[11:12]
	s_and_b64 exec, exec, vcc
	s_cbranch_execz .LBB5_384
.LBB5_383:                              ; =>This Inner Loop Header: Depth=1
	s_sleep 1
	global_store_dwordx2 v[0:1], v[6:7], off
	v_mov_b32_e32 v4, s0
	v_mov_b32_e32 v5, s1
	s_waitcnt vmcnt(0)
	global_atomic_cmpswap_x2 v[4:5], v8, v[4:7], s[2:3] offset:24 glc
	s_waitcnt vmcnt(0)
	v_cmp_eq_u64_e32 vcc, v[4:5], v[6:7]
	v_mov_b32_e32 v7, v5
	s_or_b64 s[4:5], vcc, s[4:5]
	v_mov_b32_e32 v6, v4
	s_andn2_b64 exec, exec, s[4:5]
	s_cbranch_execnz .LBB5_383
.LBB5_384:
	s_or_b64 exec, exec, s[6:7]
.LBB5_385:
	v_readfirstlane_b32 s0, v32
	s_waitcnt vmcnt(0)
	v_mov_b32_e32 v0, 0
	v_mov_b32_e32 v1, 0
	v_cmp_eq_u32_e64 s[0:1], s0, v32
	s_and_saveexec_b64 s[4:5], s[0:1]
	s_cbranch_execz .LBB5_391
; %bb.386:
	v_mov_b32_e32 v4, 0
	global_load_dwordx2 v[7:8], v4, s[2:3] offset:24 glc
	s_waitcnt vmcnt(0)
	buffer_wbinvl1_vol
	global_load_dwordx2 v[0:1], v4, s[2:3] offset:40
	global_load_dwordx2 v[5:6], v4, s[2:3]
	s_waitcnt vmcnt(1)
	v_and_b32_e32 v0, v0, v7
	v_and_b32_e32 v1, v1, v8
	v_mul_lo_u32 v1, v1, 24
	v_mul_hi_u32 v9, v0, 24
	v_mul_lo_u32 v0, v0, 24
	v_add_u32_e32 v1, v9, v1
	s_waitcnt vmcnt(0)
	v_add_co_u32_e32 v0, vcc, v5, v0
	v_addc_co_u32_e32 v1, vcc, v6, v1, vcc
	global_load_dwordx2 v[5:6], v[0:1], off glc
	s_waitcnt vmcnt(0)
	global_atomic_cmpswap_x2 v[0:1], v4, v[5:8], s[2:3] offset:24 glc
	s_waitcnt vmcnt(0)
	buffer_wbinvl1_vol
	v_cmp_ne_u64_e32 vcc, v[0:1], v[7:8]
	s_and_saveexec_b64 s[6:7], vcc
	s_cbranch_execz .LBB5_390
; %bb.387:
	s_mov_b64 s[8:9], 0
.LBB5_388:                              ; =>This Inner Loop Header: Depth=1
	s_sleep 1
	global_load_dwordx2 v[5:6], v4, s[2:3] offset:40
	global_load_dwordx2 v[9:10], v4, s[2:3]
	v_mov_b32_e32 v8, v1
	v_mov_b32_e32 v7, v0
	s_waitcnt vmcnt(1)
	v_and_b32_e32 v0, v5, v7
	s_waitcnt vmcnt(0)
	v_mad_u64_u32 v[0:1], s[10:11], v0, 24, v[9:10]
	v_and_b32_e32 v5, v6, v8
	v_mad_u64_u32 v[5:6], s[10:11], v5, 24, v[1:2]
	v_mov_b32_e32 v1, v5
	global_load_dwordx2 v[5:6], v[0:1], off glc
	s_waitcnt vmcnt(0)
	global_atomic_cmpswap_x2 v[0:1], v4, v[5:8], s[2:3] offset:24 glc
	s_waitcnt vmcnt(0)
	buffer_wbinvl1_vol
	v_cmp_eq_u64_e32 vcc, v[0:1], v[7:8]
	s_or_b64 s[8:9], vcc, s[8:9]
	s_andn2_b64 exec, exec, s[8:9]
	s_cbranch_execnz .LBB5_388
; %bb.389:
	s_or_b64 exec, exec, s[8:9]
.LBB5_390:
	s_or_b64 exec, exec, s[6:7]
.LBB5_391:
	s_or_b64 exec, exec, s[4:5]
	v_mov_b32_e32 v5, 0
	global_load_dwordx2 v[10:11], v5, s[2:3] offset:40
	global_load_dwordx4 v[6:9], v5, s[2:3]
	v_readfirstlane_b32 s5, v1
	v_readfirstlane_b32 s4, v0
	s_mov_b64 s[6:7], exec
	s_waitcnt vmcnt(1)
	v_readfirstlane_b32 s8, v10
	v_readfirstlane_b32 s9, v11
	s_and_b64 s[8:9], s[8:9], s[4:5]
	s_mul_i32 s10, s9, 24
	s_mul_hi_u32 s11, s8, 24
	s_mul_i32 s12, s8, 24
	s_add_i32 s10, s11, s10
	v_mov_b32_e32 v0, s10
	s_waitcnt vmcnt(0)
	v_add_co_u32_e32 v10, vcc, s12, v6
	v_addc_co_u32_e32 v11, vcc, v7, v0, vcc
	s_and_saveexec_b64 s[10:11], s[0:1]
	s_cbranch_execz .LBB5_393
; %bb.392:
	v_mov_b32_e32 v13, s7
	v_mov_b32_e32 v12, s6
	;; [unrolled: 1-line block ×4, first 2 shown]
	global_store_dwordx4 v[10:11], v[12:15], off offset:8
.LBB5_393:
	s_or_b64 exec, exec, s[10:11]
	s_lshl_b64 s[6:7], s[8:9], 12
	v_mov_b32_e32 v0, s7
	v_add_co_u32_e32 v1, vcc, s6, v8
	v_addc_co_u32_e32 v0, vcc, v9, v0, vcc
	s_movk_i32 s6, 0xff1d
	v_and_or_b32 v2, v2, s6, 34
	s_mov_b32 s8, 0
	v_mov_b32_e32 v4, 0x48
	v_readfirstlane_b32 s6, v1
	v_readfirstlane_b32 s7, v0
	s_mov_b32 s9, s8
	s_mov_b32 s10, s8
	;; [unrolled: 1-line block ×3, first 2 shown]
	s_nop 1
	global_store_dwordx4 v31, v[2:5], s[6:7]
	v_mov_b32_e32 v0, s8
	v_mov_b32_e32 v1, s9
	;; [unrolled: 1-line block ×4, first 2 shown]
	global_store_dwordx4 v31, v[0:3], s[6:7] offset:16
	global_store_dwordx4 v31, v[0:3], s[6:7] offset:32
	;; [unrolled: 1-line block ×3, first 2 shown]
	s_and_saveexec_b64 s[6:7], s[0:1]
	s_cbranch_execz .LBB5_401
; %bb.394:
	v_mov_b32_e32 v8, 0
	global_load_dwordx2 v[14:15], v8, s[2:3] offset:32 glc
	global_load_dwordx2 v[0:1], v8, s[2:3] offset:40
	v_mov_b32_e32 v12, s4
	v_mov_b32_e32 v13, s5
	s_waitcnt vmcnt(0)
	v_readfirstlane_b32 s8, v0
	v_readfirstlane_b32 s9, v1
	s_and_b64 s[8:9], s[8:9], s[4:5]
	s_mul_i32 s9, s9, 24
	s_mul_hi_u32 s10, s8, 24
	s_mul_i32 s8, s8, 24
	s_add_i32 s9, s10, s9
	v_mov_b32_e32 v0, s9
	v_add_co_u32_e32 v4, vcc, s8, v6
	v_addc_co_u32_e32 v5, vcc, v7, v0, vcc
	global_store_dwordx2 v[4:5], v[14:15], off
	s_waitcnt vmcnt(0)
	global_atomic_cmpswap_x2 v[2:3], v8, v[12:15], s[2:3] offset:32 glc
	s_waitcnt vmcnt(0)
	v_cmp_ne_u64_e32 vcc, v[2:3], v[14:15]
	s_and_saveexec_b64 s[8:9], vcc
	s_cbranch_execz .LBB5_397
; %bb.395:
	s_mov_b64 s[10:11], 0
.LBB5_396:                              ; =>This Inner Loop Header: Depth=1
	s_sleep 1
	global_store_dwordx2 v[4:5], v[2:3], off
	v_mov_b32_e32 v0, s4
	v_mov_b32_e32 v1, s5
	s_waitcnt vmcnt(0)
	global_atomic_cmpswap_x2 v[0:1], v8, v[0:3], s[2:3] offset:32 glc
	s_waitcnt vmcnt(0)
	v_cmp_eq_u64_e32 vcc, v[0:1], v[2:3]
	v_mov_b32_e32 v3, v1
	s_or_b64 s[10:11], vcc, s[10:11]
	v_mov_b32_e32 v2, v0
	s_andn2_b64 exec, exec, s[10:11]
	s_cbranch_execnz .LBB5_396
.LBB5_397:
	s_or_b64 exec, exec, s[8:9]
	v_mov_b32_e32 v3, 0
	global_load_dwordx2 v[0:1], v3, s[2:3] offset:16
	s_mov_b64 s[8:9], exec
	v_mbcnt_lo_u32_b32 v2, s8, 0
	v_mbcnt_hi_u32_b32 v2, s9, v2
	v_cmp_eq_u32_e32 vcc, 0, v2
	s_and_saveexec_b64 s[10:11], vcc
	s_cbranch_execz .LBB5_399
; %bb.398:
	s_bcnt1_i32_b64 s8, s[8:9]
	v_mov_b32_e32 v2, s8
	s_waitcnt vmcnt(0)
	global_atomic_add_x2 v[0:1], v[2:3], off offset:8
.LBB5_399:
	s_or_b64 exec, exec, s[10:11]
	s_waitcnt vmcnt(0)
	global_load_dwordx2 v[2:3], v[0:1], off offset:16
	s_waitcnt vmcnt(0)
	v_cmp_eq_u64_e32 vcc, 0, v[2:3]
	s_cbranch_vccnz .LBB5_401
; %bb.400:
	global_load_dword v0, v[0:1], off offset:24
	v_mov_b32_e32 v1, 0
	s_waitcnt vmcnt(0)
	v_readfirstlane_b32 s8, v0
	s_and_b32 m0, s8, 0xffffff
	global_store_dwordx2 v[2:3], v[0:1], off
	s_sendmsg sendmsg(MSG_INTERRUPT)
.LBB5_401:
	s_or_b64 exec, exec, s[6:7]
	s_branch .LBB5_405
.LBB5_402:                              ;   in Loop: Header=BB5_405 Depth=1
	s_or_b64 exec, exec, s[6:7]
	v_readfirstlane_b32 s6, v0
	s_cmp_eq_u32 s6, 0
	s_cbranch_scc1 .LBB5_404
; %bb.403:                              ;   in Loop: Header=BB5_405 Depth=1
	s_sleep 1
	s_cbranch_execnz .LBB5_405
	s_branch .LBB5_407
.LBB5_404:
	s_branch .LBB5_407
.LBB5_405:                              ; =>This Inner Loop Header: Depth=1
	v_mov_b32_e32 v0, 1
	s_and_saveexec_b64 s[6:7], s[0:1]
	s_cbranch_execz .LBB5_402
; %bb.406:                              ;   in Loop: Header=BB5_405 Depth=1
	global_load_dword v0, v[10:11], off offset:20 glc
	s_waitcnt vmcnt(0)
	buffer_wbinvl1_vol
	v_and_b32_e32 v0, 1, v0
	s_branch .LBB5_402
.LBB5_407:
	s_and_saveexec_b64 s[6:7], s[0:1]
	s_cbranch_execz .LBB5_410
; %bb.408:
	v_mov_b32_e32 v6, 0
	global_load_dwordx2 v[0:1], v6, s[2:3] offset:40
	global_load_dwordx2 v[9:10], v6, s[2:3] offset:24 glc
	global_load_dwordx2 v[2:3], v6, s[2:3]
	s_waitcnt vmcnt(2)
	v_readfirstlane_b32 s8, v0
	v_readfirstlane_b32 s9, v1
	s_add_u32 s10, s8, 1
	s_addc_u32 s11, s9, 0
	s_add_u32 s0, s10, s4
	s_addc_u32 s1, s11, s5
	s_cmp_eq_u64 s[0:1], 0
	s_cselect_b32 s1, s11, s1
	s_cselect_b32 s0, s10, s0
	s_and_b64 s[4:5], s[0:1], s[8:9]
	s_mul_i32 s5, s5, 24
	s_mul_hi_u32 s8, s4, 24
	s_mul_i32 s4, s4, 24
	s_add_i32 s5, s8, s5
	v_mov_b32_e32 v0, s5
	s_waitcnt vmcnt(0)
	v_add_co_u32_e32 v4, vcc, s4, v2
	v_addc_co_u32_e32 v5, vcc, v3, v0, vcc
	v_mov_b32_e32 v7, s0
	global_store_dwordx2 v[4:5], v[9:10], off
	v_mov_b32_e32 v8, s1
	s_waitcnt vmcnt(0)
	global_atomic_cmpswap_x2 v[2:3], v6, v[7:10], s[2:3] offset:24 glc
	s_mov_b64 s[4:5], 0
	s_waitcnt vmcnt(0)
	v_cmp_ne_u64_e32 vcc, v[2:3], v[9:10]
	s_and_b64 exec, exec, vcc
	s_cbranch_execz .LBB5_410
.LBB5_409:                              ; =>This Inner Loop Header: Depth=1
	s_sleep 1
	global_store_dwordx2 v[4:5], v[2:3], off
	v_mov_b32_e32 v0, s0
	v_mov_b32_e32 v1, s1
	s_waitcnt vmcnt(0)
	global_atomic_cmpswap_x2 v[0:1], v6, v[0:3], s[2:3] offset:24 glc
	s_waitcnt vmcnt(0)
	v_cmp_eq_u64_e32 vcc, v[0:1], v[2:3]
	v_mov_b32_e32 v3, v1
	s_or_b64 s[4:5], vcc, s[4:5]
	v_mov_b32_e32 v2, v0
	s_andn2_b64 exec, exec, s[4:5]
	s_cbranch_execnz .LBB5_409
.LBB5_410:
	s_or_b64 exec, exec, s[6:7]
	s_trap 2
	; divergent unreachable
	s_endpgm
	.section	.rodata,"a",@progbits
	.p2align	6, 0x0
	.amdhsa_kernel _ZN9rocsparseL39csr2csr_compress_fill_warp_start_deviceILj256ELj32ELj2EdEEviPKT2_PjS1_
		.amdhsa_group_segment_fixed_size 0
		.amdhsa_private_segment_fixed_size 0
		.amdhsa_kernarg_size 288
		.amdhsa_user_sgpr_count 6
		.amdhsa_user_sgpr_private_segment_buffer 1
		.amdhsa_user_sgpr_dispatch_ptr 0
		.amdhsa_user_sgpr_queue_ptr 0
		.amdhsa_user_sgpr_kernarg_segment_ptr 1
		.amdhsa_user_sgpr_dispatch_id 0
		.amdhsa_user_sgpr_flat_scratch_init 0
		.amdhsa_user_sgpr_private_segment_size 0
		.amdhsa_uses_dynamic_stack 0
		.amdhsa_system_sgpr_private_segment_wavefront_offset 0
		.amdhsa_system_sgpr_workgroup_id_x 1
		.amdhsa_system_sgpr_workgroup_id_y 0
		.amdhsa_system_sgpr_workgroup_id_z 0
		.amdhsa_system_sgpr_workgroup_info 0
		.amdhsa_system_vgpr_workitem_id 0
		.amdhsa_next_free_vgpr 34
		.amdhsa_next_free_sgpr 20
		.amdhsa_reserve_vcc 1
		.amdhsa_reserve_flat_scratch 0
		.amdhsa_float_round_mode_32 0
		.amdhsa_float_round_mode_16_64 0
		.amdhsa_float_denorm_mode_32 3
		.amdhsa_float_denorm_mode_16_64 3
		.amdhsa_dx10_clamp 1
		.amdhsa_ieee_mode 1
		.amdhsa_fp16_overflow 0
		.amdhsa_exception_fp_ieee_invalid_op 0
		.amdhsa_exception_fp_denorm_src 0
		.amdhsa_exception_fp_ieee_div_zero 0
		.amdhsa_exception_fp_ieee_overflow 0
		.amdhsa_exception_fp_ieee_underflow 0
		.amdhsa_exception_fp_ieee_inexact 0
		.amdhsa_exception_int_div_zero 0
	.end_amdhsa_kernel
	.section	.text._ZN9rocsparseL39csr2csr_compress_fill_warp_start_deviceILj256ELj32ELj2EdEEviPKT2_PjS1_,"axG",@progbits,_ZN9rocsparseL39csr2csr_compress_fill_warp_start_deviceILj256ELj32ELj2EdEEviPKT2_PjS1_,comdat
.Lfunc_end5:
	.size	_ZN9rocsparseL39csr2csr_compress_fill_warp_start_deviceILj256ELj32ELj2EdEEviPKT2_PjS1_, .Lfunc_end5-_ZN9rocsparseL39csr2csr_compress_fill_warp_start_deviceILj256ELj32ELj2EdEEviPKT2_PjS1_
                                        ; -- End function
	.set _ZN9rocsparseL39csr2csr_compress_fill_warp_start_deviceILj256ELj32ELj2EdEEviPKT2_PjS1_.num_vgpr, 34
	.set _ZN9rocsparseL39csr2csr_compress_fill_warp_start_deviceILj256ELj32ELj2EdEEviPKT2_PjS1_.num_agpr, 0
	.set _ZN9rocsparseL39csr2csr_compress_fill_warp_start_deviceILj256ELj32ELj2EdEEviPKT2_PjS1_.numbered_sgpr, 20
	.set _ZN9rocsparseL39csr2csr_compress_fill_warp_start_deviceILj256ELj32ELj2EdEEviPKT2_PjS1_.num_named_barrier, 0
	.set _ZN9rocsparseL39csr2csr_compress_fill_warp_start_deviceILj256ELj32ELj2EdEEviPKT2_PjS1_.private_seg_size, 0
	.set _ZN9rocsparseL39csr2csr_compress_fill_warp_start_deviceILj256ELj32ELj2EdEEviPKT2_PjS1_.uses_vcc, 1
	.set _ZN9rocsparseL39csr2csr_compress_fill_warp_start_deviceILj256ELj32ELj2EdEEviPKT2_PjS1_.uses_flat_scratch, 0
	.set _ZN9rocsparseL39csr2csr_compress_fill_warp_start_deviceILj256ELj32ELj2EdEEviPKT2_PjS1_.has_dyn_sized_stack, 0
	.set _ZN9rocsparseL39csr2csr_compress_fill_warp_start_deviceILj256ELj32ELj2EdEEviPKT2_PjS1_.has_recursion, 0
	.set _ZN9rocsparseL39csr2csr_compress_fill_warp_start_deviceILj256ELj32ELj2EdEEviPKT2_PjS1_.has_indirect_call, 0
	.section	.AMDGPU.csdata,"",@progbits
; Kernel info:
; codeLenInByte = 13384
; TotalNumSgprs: 24
; NumVgprs: 34
; ScratchSize: 0
; MemoryBound: 0
; FloatMode: 240
; IeeeMode: 1
; LDSByteSize: 0 bytes/workgroup (compile time only)
; SGPRBlocks: 2
; VGPRBlocks: 8
; NumSGPRsForWavesPerEU: 24
; NumVGPRsForWavesPerEU: 34
; Occupancy: 7
; WaveLimiterHint : 1
; COMPUTE_PGM_RSRC2:SCRATCH_EN: 0
; COMPUTE_PGM_RSRC2:USER_SGPR: 6
; COMPUTE_PGM_RSRC2:TRAP_HANDLER: 0
; COMPUTE_PGM_RSRC2:TGID_X_EN: 1
; COMPUTE_PGM_RSRC2:TGID_Y_EN: 0
; COMPUTE_PGM_RSRC2:TGID_Z_EN: 0
; COMPUTE_PGM_RSRC2:TIDIG_COMP_CNT: 0
	.section	.text._ZN9rocsparseL39csr2csr_compress_fill_warp_start_deviceILj256ELj64ELj2EdEEviPKT2_PjS1_,"axG",@progbits,_ZN9rocsparseL39csr2csr_compress_fill_warp_start_deviceILj256ELj64ELj2EdEEviPKT2_PjS1_,comdat
	.globl	_ZN9rocsparseL39csr2csr_compress_fill_warp_start_deviceILj256ELj64ELj2EdEEviPKT2_PjS1_ ; -- Begin function _ZN9rocsparseL39csr2csr_compress_fill_warp_start_deviceILj256ELj64ELj2EdEEviPKT2_PjS1_
	.p2align	8
	.type	_ZN9rocsparseL39csr2csr_compress_fill_warp_start_deviceILj256ELj64ELj2EdEEviPKT2_PjS1_,@function
_ZN9rocsparseL39csr2csr_compress_fill_warp_start_deviceILj256ELj64ELj2EdEEviPKT2_PjS1_: ; @_ZN9rocsparseL39csr2csr_compress_fill_warp_start_deviceILj256ELj64ELj2EdEEviPKT2_PjS1_
; %bb.0:
	s_load_dwordx4 s[8:11], s[4:5], 0x8
	v_lshl_or_b32 v2, s6, 9, v0
	v_cmp_eq_u32_e32 vcc, 0, v2
	s_and_saveexec_b64 s[0:1], vcc
	s_cbranch_execz .LBB6_2
; %bb.1:
	v_mov_b32_e32 v1, 0
	s_waitcnt lgkmcnt(0)
	global_store_dword v1, v1, s[10:11]
.LBB6_2:
	s_or_b64 exec, exec, s[0:1]
	s_load_dword s19, s[4:5], 0x0
	s_load_dwordx2 s[12:13], s[4:5], 0x18
	v_lshrrev_b32_e32 v0, 6, v0
	v_lshl_or_b32 v0, s6, 3, v0
	s_mov_b64 s[6:7], 0
	s_waitcnt lgkmcnt(0)
	s_add_i32 s0, s19, -1
	v_cmp_gt_i32_e32 vcc, s19, v2
	s_lshr_b32 s18, s0, 6
	s_mov_b64 s[0:1], -1
	s_and_saveexec_b64 s[14:15], vcc
	s_cbranch_execnz .LBB6_6
; %bb.3:
	s_or_b64 exec, exec, s[14:15]
	s_and_saveexec_b64 s[14:15], s[0:1]
	s_cbranch_execnz .LBB6_9
.LBB6_4:
	s_or_b64 exec, exec, s[14:15]
	s_and_saveexec_b64 s[0:1], s[6:7]
	s_xor_b64 s[0:1], exec, s[0:1]
	s_cbranch_execnz .LBB6_14
.LBB6_5:
	s_endpgm
.LBB6_6:
	v_ashrrev_i32_e32 v3, 31, v2
	v_lshlrev_b64 v[3:4], 3, v[2:3]
	v_mov_b32_e32 v1, s9
	v_add_co_u32_e32 v3, vcc, s8, v3
	v_addc_co_u32_e32 v4, vcc, v1, v4, vcc
	global_load_dwordx2 v[3:4], v[3:4], off glc slc
	s_mov_b32 s0, 0
	s_mov_b32 s1, 0x38100000
	s_mov_b64 s[16:17], 0
	v_cmp_ge_u32_e64 s[2:3], s18, v0
	s_mov_b64 s[6:7], -1
	s_waitcnt vmcnt(0)
	v_cmp_gt_f64_e32 vcc, 0, v[3:4]
	v_xor_b32_e32 v1, 0x80000000, v4
	v_cndmask_b32_e32 v4, v4, v1, vcc
	v_cmp_lt_f64_e32 vcc, s[12:13], v[3:4]
	v_cmp_lt_f64_e64 s[0:1], s[0:1], v[3:4]
	s_and_b64 s[0:1], vcc, s[0:1]
	v_cndmask_b32_e64 v1, 0, 1, s[0:1]
	v_cmp_ne_u32_e32 vcc, 0, v1
	s_and_saveexec_b64 s[0:1], s[2:3]
	s_cbranch_execz .LBB6_8
; %bb.7:
	v_mov_b32_e32 v1, 0
	v_lshlrev_b64 v[3:4], 2, v[0:1]
	s_bcnt1_i32_b64 s2, vcc
	v_mov_b32_e32 v1, s11
	v_add_co_u32_e32 v3, vcc, s10, v3
	s_mov_b64 s[16:17], exec
	v_addc_co_u32_e32 v4, vcc, v1, v4, vcc
	v_mov_b32_e32 v1, s2
	s_xor_b64 s[6:7], exec, -1
	global_store_dword v[3:4], v1, off offset:4
.LBB6_8:
	s_or_b64 exec, exec, s[0:1]
	s_and_b64 s[6:7], s[6:7], exec
	s_orn2_b64 s[0:1], s[16:17], exec
	s_or_b64 exec, exec, s[14:15]
	s_and_saveexec_b64 s[14:15], s[0:1]
	s_cbranch_execz .LBB6_4
.LBB6_9:
	v_add_u32_e32 v1, 0x100, v2
	v_cmp_gt_i32_e32 vcc, s19, v1
	s_mov_b64 s[0:1], s[6:7]
	s_and_saveexec_b64 s[16:17], vcc
	s_cbranch_execz .LBB6_13
; %bb.10:
	v_ashrrev_i32_e32 v3, 31, v2
	v_lshlrev_b64 v[1:2], 3, v[2:3]
	v_mov_b32_e32 v3, s9
	v_add_co_u32_e32 v1, vcc, s8, v1
	v_addc_co_u32_e32 v2, vcc, v3, v2, vcc
	global_load_dwordx2 v[1:2], v[1:2], off offset:2048 glc slc
	s_mov_b32 s0, 0
	s_mov_b32 s1, 0x38100000
	v_add_u32_e32 v0, 4, v0
	v_cmp_ge_u32_e64 s[2:3], s18, v0
	s_mov_b64 s[8:9], -1
	s_waitcnt vmcnt(0)
	v_cmp_gt_f64_e32 vcc, 0, v[1:2]
	v_xor_b32_e32 v3, 0x80000000, v2
	v_cndmask_b32_e32 v2, v2, v3, vcc
	v_cmp_lt_f64_e32 vcc, s[12:13], v[1:2]
	v_cmp_lt_f64_e64 s[0:1], s[0:1], v[1:2]
	s_and_b64 s[0:1], vcc, s[0:1]
	v_cndmask_b32_e64 v1, 0, 1, s[0:1]
	v_cmp_ne_u32_e32 vcc, 0, v1
	s_and_saveexec_b64 s[0:1], s[2:3]
	s_xor_b64 s[0:1], exec, s[0:1]
	s_cbranch_execz .LBB6_12
; %bb.11:
	v_mov_b32_e32 v1, 0
	v_lshlrev_b64 v[0:1], 2, v[0:1]
	s_bcnt1_i32_b64 s2, vcc
	v_mov_b32_e32 v2, s11
	v_add_co_u32_e32 v0, vcc, s10, v0
	v_addc_co_u32_e32 v1, vcc, v2, v1, vcc
	v_mov_b32_e32 v2, s2
	global_store_dword v[0:1], v2, off offset:4
	s_xor_b64 s[8:9], exec, -1
.LBB6_12:
	s_or_b64 exec, exec, s[0:1]
	s_andn2_b64 s[0:1], s[6:7], exec
	s_and_b64 s[2:3], s[8:9], exec
	s_or_b64 s[0:1], s[0:1], s[2:3]
.LBB6_13:
	s_or_b64 exec, exec, s[16:17]
	s_andn2_b64 s[2:3], s[6:7], exec
	s_and_b64 s[0:1], s[0:1], exec
	s_or_b64 s[6:7], s[2:3], s[0:1]
	s_or_b64 exec, exec, s[14:15]
	s_and_saveexec_b64 s[0:1], s[6:7]
	s_xor_b64 s[0:1], exec, s[0:1]
	s_cbranch_execz .LBB6_5
.LBB6_14:
	s_load_dwordx2 s[2:3], s[4:5], 0x70
	v_mbcnt_lo_u32_b32 v0, -1, 0
	v_mbcnt_hi_u32_b32 v32, -1, v0
	v_readfirstlane_b32 s0, v32
	v_mov_b32_e32 v5, 0
	v_mov_b32_e32 v6, 0
	v_cmp_eq_u32_e64 s[0:1], s0, v32
	s_and_saveexec_b64 s[4:5], s[0:1]
	s_cbranch_execz .LBB6_20
; %bb.15:
	v_mov_b32_e32 v0, 0
	s_waitcnt lgkmcnt(0)
	global_load_dwordx2 v[3:4], v0, s[2:3] offset:24 glc
	s_waitcnt vmcnt(0)
	buffer_wbinvl1_vol
	global_load_dwordx2 v[1:2], v0, s[2:3] offset:40
	global_load_dwordx2 v[5:6], v0, s[2:3]
	s_waitcnt vmcnt(1)
	v_and_b32_e32 v1, v1, v3
	v_and_b32_e32 v2, v2, v4
	v_mul_lo_u32 v2, v2, 24
	v_mul_hi_u32 v7, v1, 24
	v_mul_lo_u32 v1, v1, 24
	v_add_u32_e32 v2, v7, v2
	s_waitcnt vmcnt(0)
	v_add_co_u32_e32 v1, vcc, v5, v1
	v_addc_co_u32_e32 v2, vcc, v6, v2, vcc
	global_load_dwordx2 v[1:2], v[1:2], off glc
	s_waitcnt vmcnt(0)
	global_atomic_cmpswap_x2 v[5:6], v0, v[1:4], s[2:3] offset:24 glc
	s_waitcnt vmcnt(0)
	buffer_wbinvl1_vol
	v_cmp_ne_u64_e32 vcc, v[5:6], v[3:4]
	s_and_saveexec_b64 s[6:7], vcc
	s_cbranch_execz .LBB6_19
; %bb.16:
	s_mov_b64 s[8:9], 0
.LBB6_17:                               ; =>This Inner Loop Header: Depth=1
	s_sleep 1
	global_load_dwordx2 v[1:2], v0, s[2:3] offset:40
	global_load_dwordx2 v[7:8], v0, s[2:3]
	v_mov_b32_e32 v3, v5
	v_mov_b32_e32 v4, v6
	s_waitcnt vmcnt(1)
	v_and_b32_e32 v1, v1, v3
	s_waitcnt vmcnt(0)
	v_mad_u64_u32 v[5:6], s[10:11], v1, 24, v[7:8]
	v_and_b32_e32 v2, v2, v4
	v_mov_b32_e32 v1, v6
	v_mad_u64_u32 v[1:2], s[10:11], v2, 24, v[1:2]
	v_mov_b32_e32 v6, v1
	global_load_dwordx2 v[1:2], v[5:6], off glc
	s_waitcnt vmcnt(0)
	global_atomic_cmpswap_x2 v[5:6], v0, v[1:4], s[2:3] offset:24 glc
	s_waitcnt vmcnt(0)
	buffer_wbinvl1_vol
	v_cmp_eq_u64_e32 vcc, v[5:6], v[3:4]
	s_or_b64 s[8:9], vcc, s[8:9]
	s_andn2_b64 exec, exec, s[8:9]
	s_cbranch_execnz .LBB6_17
; %bb.18:
	s_or_b64 exec, exec, s[8:9]
.LBB6_19:
	s_or_b64 exec, exec, s[6:7]
.LBB6_20:
	s_or_b64 exec, exec, s[4:5]
	v_mov_b32_e32 v4, 0
	s_waitcnt lgkmcnt(0)
	global_load_dwordx2 v[7:8], v4, s[2:3] offset:40
	global_load_dwordx4 v[0:3], v4, s[2:3]
	v_readfirstlane_b32 s5, v6
	v_readfirstlane_b32 s4, v5
	s_mov_b64 s[6:7], exec
	s_waitcnt vmcnt(1)
	v_readfirstlane_b32 s8, v7
	v_readfirstlane_b32 s9, v8
	s_and_b64 s[8:9], s[8:9], s[4:5]
	s_mul_i32 s10, s9, 24
	s_mul_hi_u32 s11, s8, 24
	s_mul_i32 s12, s8, 24
	s_add_i32 s10, s11, s10
	v_mov_b32_e32 v5, s10
	s_waitcnt vmcnt(0)
	v_add_co_u32_e32 v7, vcc, s12, v0
	v_addc_co_u32_e32 v8, vcc, v1, v5, vcc
	s_and_saveexec_b64 s[10:11], s[0:1]
	s_cbranch_execz .LBB6_22
; %bb.21:
	v_mov_b32_e32 v10, s7
	v_mov_b32_e32 v9, s6
	;; [unrolled: 1-line block ×4, first 2 shown]
	global_store_dwordx4 v[7:8], v[9:12], off offset:8
.LBB6_22:
	s_or_b64 exec, exec, s[10:11]
	s_lshl_b64 s[6:7], s[8:9], 12
	v_mov_b32_e32 v5, s7
	v_add_co_u32_e32 v2, vcc, s6, v2
	v_addc_co_u32_e32 v11, vcc, v3, v5, vcc
	v_lshlrev_b32_e32 v31, 6, v32
	s_mov_b32 s8, 0
	v_mov_b32_e32 v3, 33
	v_mov_b32_e32 v5, v4
	;; [unrolled: 1-line block ×3, first 2 shown]
	v_readfirstlane_b32 s6, v2
	v_readfirstlane_b32 s7, v11
	v_add_co_u32_e32 v9, vcc, v2, v31
	s_mov_b32 s9, s8
	s_mov_b32 s10, s8
	;; [unrolled: 1-line block ×3, first 2 shown]
	s_nop 0
	global_store_dwordx4 v31, v[3:6], s[6:7]
	v_mov_b32_e32 v2, s8
	v_addc_co_u32_e32 v10, vcc, 0, v11, vcc
	v_mov_b32_e32 v3, s9
	v_mov_b32_e32 v4, s10
	;; [unrolled: 1-line block ×3, first 2 shown]
	global_store_dwordx4 v31, v[2:5], s[6:7] offset:16
	global_store_dwordx4 v31, v[2:5], s[6:7] offset:32
	;; [unrolled: 1-line block ×3, first 2 shown]
	s_and_saveexec_b64 s[6:7], s[0:1]
	s_cbranch_execz .LBB6_30
; %bb.23:
	v_mov_b32_e32 v6, 0
	global_load_dwordx2 v[13:14], v6, s[2:3] offset:32 glc
	global_load_dwordx2 v[2:3], v6, s[2:3] offset:40
	v_mov_b32_e32 v11, s4
	v_mov_b32_e32 v12, s5
	s_waitcnt vmcnt(0)
	v_and_b32_e32 v2, s4, v2
	v_and_b32_e32 v3, s5, v3
	v_mul_lo_u32 v3, v3, 24
	v_mul_hi_u32 v4, v2, 24
	v_mul_lo_u32 v2, v2, 24
	v_add_u32_e32 v3, v4, v3
	v_add_co_u32_e32 v4, vcc, v0, v2
	v_addc_co_u32_e32 v5, vcc, v1, v3, vcc
	global_store_dwordx2 v[4:5], v[13:14], off
	s_waitcnt vmcnt(0)
	global_atomic_cmpswap_x2 v[2:3], v6, v[11:14], s[2:3] offset:32 glc
	s_waitcnt vmcnt(0)
	v_cmp_ne_u64_e32 vcc, v[2:3], v[13:14]
	s_and_saveexec_b64 s[8:9], vcc
	s_cbranch_execz .LBB6_26
; %bb.24:
	s_mov_b64 s[10:11], 0
.LBB6_25:                               ; =>This Inner Loop Header: Depth=1
	s_sleep 1
	global_store_dwordx2 v[4:5], v[2:3], off
	v_mov_b32_e32 v0, s4
	v_mov_b32_e32 v1, s5
	s_waitcnt vmcnt(0)
	global_atomic_cmpswap_x2 v[0:1], v6, v[0:3], s[2:3] offset:32 glc
	s_waitcnt vmcnt(0)
	v_cmp_eq_u64_e32 vcc, v[0:1], v[2:3]
	v_mov_b32_e32 v3, v1
	s_or_b64 s[10:11], vcc, s[10:11]
	v_mov_b32_e32 v2, v0
	s_andn2_b64 exec, exec, s[10:11]
	s_cbranch_execnz .LBB6_25
.LBB6_26:
	s_or_b64 exec, exec, s[8:9]
	v_mov_b32_e32 v3, 0
	global_load_dwordx2 v[0:1], v3, s[2:3] offset:16
	s_mov_b64 s[8:9], exec
	v_mbcnt_lo_u32_b32 v2, s8, 0
	v_mbcnt_hi_u32_b32 v2, s9, v2
	v_cmp_eq_u32_e32 vcc, 0, v2
	s_and_saveexec_b64 s[10:11], vcc
	s_cbranch_execz .LBB6_28
; %bb.27:
	s_bcnt1_i32_b64 s8, s[8:9]
	v_mov_b32_e32 v2, s8
	s_waitcnt vmcnt(0)
	global_atomic_add_x2 v[0:1], v[2:3], off offset:8
.LBB6_28:
	s_or_b64 exec, exec, s[10:11]
	s_waitcnt vmcnt(0)
	global_load_dwordx2 v[2:3], v[0:1], off offset:16
	s_waitcnt vmcnt(0)
	v_cmp_eq_u64_e32 vcc, 0, v[2:3]
	s_cbranch_vccnz .LBB6_30
; %bb.29:
	global_load_dword v0, v[0:1], off offset:24
	v_mov_b32_e32 v1, 0
	s_waitcnt vmcnt(0)
	v_readfirstlane_b32 s8, v0
	s_and_b32 m0, s8, 0xffffff
	global_store_dwordx2 v[2:3], v[0:1], off
	s_sendmsg sendmsg(MSG_INTERRUPT)
.LBB6_30:
	s_or_b64 exec, exec, s[6:7]
	s_branch .LBB6_34
.LBB6_31:                               ;   in Loop: Header=BB6_34 Depth=1
	s_or_b64 exec, exec, s[6:7]
	v_readfirstlane_b32 s6, v0
	s_cmp_eq_u32 s6, 0
	s_cbranch_scc1 .LBB6_33
; %bb.32:                               ;   in Loop: Header=BB6_34 Depth=1
	s_sleep 1
	s_cbranch_execnz .LBB6_34
	s_branch .LBB6_36
.LBB6_33:
	s_branch .LBB6_36
.LBB6_34:                               ; =>This Inner Loop Header: Depth=1
	v_mov_b32_e32 v0, 1
	s_and_saveexec_b64 s[6:7], s[0:1]
	s_cbranch_execz .LBB6_31
; %bb.35:                               ;   in Loop: Header=BB6_34 Depth=1
	global_load_dword v0, v[7:8], off offset:20 glc
	s_waitcnt vmcnt(0)
	buffer_wbinvl1_vol
	v_and_b32_e32 v0, 1, v0
	s_branch .LBB6_31
.LBB6_36:
	global_load_dwordx2 v[0:1], v[9:10], off
	s_and_saveexec_b64 s[6:7], s[0:1]
	s_cbranch_execz .LBB6_39
; %bb.37:
	v_mov_b32_e32 v8, 0
	global_load_dwordx2 v[2:3], v8, s[2:3] offset:40
	global_load_dwordx2 v[11:12], v8, s[2:3] offset:24 glc
	global_load_dwordx2 v[4:5], v8, s[2:3]
	s_waitcnt vmcnt(2)
	v_readfirstlane_b32 s8, v2
	v_readfirstlane_b32 s9, v3
	s_add_u32 s10, s8, 1
	s_addc_u32 s11, s9, 0
	s_add_u32 s0, s10, s4
	s_addc_u32 s1, s11, s5
	s_cmp_eq_u64 s[0:1], 0
	s_cselect_b32 s1, s11, s1
	s_cselect_b32 s0, s10, s0
	s_and_b64 s[4:5], s[0:1], s[8:9]
	s_mul_i32 s5, s5, 24
	s_mul_hi_u32 s8, s4, 24
	s_mul_i32 s4, s4, 24
	s_add_i32 s5, s8, s5
	v_mov_b32_e32 v2, s5
	s_waitcnt vmcnt(0)
	v_add_co_u32_e32 v6, vcc, s4, v4
	v_addc_co_u32_e32 v7, vcc, v5, v2, vcc
	v_mov_b32_e32 v9, s0
	global_store_dwordx2 v[6:7], v[11:12], off
	v_mov_b32_e32 v10, s1
	s_waitcnt vmcnt(0)
	global_atomic_cmpswap_x2 v[4:5], v8, v[9:12], s[2:3] offset:24 glc
	s_mov_b64 s[4:5], 0
	s_waitcnt vmcnt(0)
	v_cmp_ne_u64_e32 vcc, v[4:5], v[11:12]
	s_and_b64 exec, exec, vcc
	s_cbranch_execz .LBB6_39
.LBB6_38:                               ; =>This Inner Loop Header: Depth=1
	s_sleep 1
	global_store_dwordx2 v[6:7], v[4:5], off
	v_mov_b32_e32 v2, s0
	v_mov_b32_e32 v3, s1
	s_waitcnt vmcnt(0)
	global_atomic_cmpswap_x2 v[2:3], v8, v[2:5], s[2:3] offset:24 glc
	s_waitcnt vmcnt(0)
	v_cmp_eq_u64_e32 vcc, v[2:3], v[4:5]
	v_mov_b32_e32 v5, v3
	s_or_b64 s[4:5], vcc, s[4:5]
	v_mov_b32_e32 v4, v2
	s_andn2_b64 exec, exec, s[4:5]
	s_cbranch_execnz .LBB6_38
.LBB6_39:
	s_or_b64 exec, exec, s[6:7]
	s_getpc_b64 s[4:5]
	s_add_u32 s4, s4, .str@rel32@lo+4
	s_addc_u32 s5, s5, .str@rel32@hi+12
	s_cmp_lg_u64 s[4:5], 0
	s_cselect_b64 s[0:1], -1, 0
	s_cmp_eq_u64 s[4:5], 0
	s_mov_b64 s[4:5], 0
	s_cbranch_scc1 .LBB6_43
; %bb.40:
	v_mov_b32_e32 v2, 0
	s_getpc_b64 s[4:5]
	s_add_u32 s4, s4, .str@rel32@lo+3
	s_addc_u32 s5, s5, .str@rel32@hi+11
.LBB6_41:                               ; =>This Inner Loop Header: Depth=1
	global_load_ubyte v3, v2, s[4:5] offset:1
	s_add_u32 s6, s4, 1
	s_addc_u32 s7, s5, 0
	s_mov_b64 s[4:5], s[6:7]
	s_waitcnt vmcnt(0)
	v_cmp_ne_u32_e32 vcc, 0, v3
	s_cbranch_vccnz .LBB6_41
; %bb.42:
	s_getpc_b64 s[4:5]
	s_add_u32 s4, s4, .str@rel32@lo+4
	s_addc_u32 s5, s5, .str@rel32@hi+12
	s_sub_u32 s4, s6, s4
	s_subb_u32 s5, s7, s5
	s_add_u32 s4, s4, 1
	s_addc_u32 s5, s5, 0
.LBB6_43:
	s_and_b64 vcc, exec, s[0:1]
	s_cbranch_vccz .LBB6_128
; %bb.44:
	s_waitcnt vmcnt(0)
	v_and_b32_e32 v33, 2, v0
	v_mov_b32_e32 v28, 0
	v_and_b32_e32 v4, -3, v0
	v_mov_b32_e32 v5, v1
	v_mov_b32_e32 v10, 2
	v_mov_b32_e32 v11, 1
	s_getpc_b64 s[6:7]
	s_add_u32 s6, s6, .str@rel32@lo+4
	s_addc_u32 s7, s7, .str@rel32@hi+12
	s_branch .LBB6_46
.LBB6_45:                               ;   in Loop: Header=BB6_46 Depth=1
	s_or_b64 exec, exec, s[12:13]
	s_sub_u32 s4, s4, s8
	s_subb_u32 s5, s5, s9
	s_add_u32 s6, s6, s8
	s_addc_u32 s7, s7, s9
	s_cmp_lg_u64 s[4:5], 0
	s_cbranch_scc0 .LBB6_129
.LBB6_46:                               ; =>This Loop Header: Depth=1
                                        ;     Child Loop BB6_49 Depth 2
                                        ;     Child Loop BB6_57 Depth 2
	;; [unrolled: 1-line block ×11, first 2 shown]
	v_cmp_lt_u64_e64 s[0:1], s[4:5], 56
	v_cmp_gt_u64_e64 s[10:11], s[4:5], 7
	s_and_b64 s[0:1], s[0:1], exec
	s_cselect_b32 s9, s5, 0
	s_cselect_b32 s8, s4, 56
	s_add_u32 s0, s6, 8
	s_addc_u32 s1, s7, 0
	s_and_b64 vcc, exec, s[10:11]
	s_cbranch_vccnz .LBB6_50
; %bb.47:                               ;   in Loop: Header=BB6_46 Depth=1
	s_cmp_eq_u64 s[4:5], 0
	s_cbranch_scc1 .LBB6_51
; %bb.48:                               ;   in Loop: Header=BB6_46 Depth=1
	v_mov_b32_e32 v6, 0
	s_lshl_b64 s[0:1], s[8:9], 3
	s_mov_b64 s[10:11], 0
	v_mov_b32_e32 v7, 0
	s_mov_b64 s[12:13], s[6:7]
.LBB6_49:                               ;   Parent Loop BB6_46 Depth=1
                                        ; =>  This Inner Loop Header: Depth=2
	global_load_ubyte v2, v28, s[12:13]
	s_waitcnt vmcnt(0)
	v_and_b32_e32 v27, 0xffff, v2
	v_lshlrev_b64 v[2:3], s10, v[27:28]
	s_add_u32 s10, s10, 8
	s_addc_u32 s11, s11, 0
	s_add_u32 s12, s12, 1
	s_addc_u32 s13, s13, 0
	v_or_b32_e32 v6, v2, v6
	s_cmp_lg_u32 s0, s10
	v_or_b32_e32 v7, v3, v7
	s_cbranch_scc1 .LBB6_49
	s_branch .LBB6_52
.LBB6_50:                               ;   in Loop: Header=BB6_46 Depth=1
	s_mov_b32 s14, 0
	s_branch .LBB6_53
.LBB6_51:                               ;   in Loop: Header=BB6_46 Depth=1
	v_mov_b32_e32 v6, 0
	v_mov_b32_e32 v7, 0
.LBB6_52:                               ;   in Loop: Header=BB6_46 Depth=1
	s_mov_b64 s[0:1], s[6:7]
	s_mov_b32 s14, 0
	s_cbranch_execnz .LBB6_54
.LBB6_53:                               ;   in Loop: Header=BB6_46 Depth=1
	global_load_dwordx2 v[6:7], v28, s[6:7]
	s_add_i32 s14, s8, -8
.LBB6_54:                               ;   in Loop: Header=BB6_46 Depth=1
	s_add_u32 s10, s0, 8
	s_addc_u32 s11, s1, 0
	s_cmp_gt_u32 s14, 7
	s_cbranch_scc1 .LBB6_58
; %bb.55:                               ;   in Loop: Header=BB6_46 Depth=1
	s_cmp_eq_u32 s14, 0
	s_cbranch_scc1 .LBB6_59
; %bb.56:                               ;   in Loop: Header=BB6_46 Depth=1
	v_mov_b32_e32 v12, 0
	s_mov_b64 s[10:11], 0
	v_mov_b32_e32 v13, 0
	s_mov_b64 s[12:13], 0
.LBB6_57:                               ;   Parent Loop BB6_46 Depth=1
                                        ; =>  This Inner Loop Header: Depth=2
	s_add_u32 s16, s0, s12
	s_addc_u32 s17, s1, s13
	global_load_ubyte v2, v28, s[16:17]
	s_add_u32 s12, s12, 1
	s_addc_u32 s13, s13, 0
	s_waitcnt vmcnt(0)
	v_and_b32_e32 v27, 0xffff, v2
	v_lshlrev_b64 v[2:3], s10, v[27:28]
	s_add_u32 s10, s10, 8
	s_addc_u32 s11, s11, 0
	v_or_b32_e32 v12, v2, v12
	s_cmp_lg_u32 s14, s12
	v_or_b32_e32 v13, v3, v13
	s_cbranch_scc1 .LBB6_57
	s_branch .LBB6_60
.LBB6_58:                               ;   in Loop: Header=BB6_46 Depth=1
                                        ; implicit-def: $vgpr12_vgpr13
	s_mov_b32 s15, 0
	s_branch .LBB6_61
.LBB6_59:                               ;   in Loop: Header=BB6_46 Depth=1
	v_mov_b32_e32 v12, 0
	v_mov_b32_e32 v13, 0
.LBB6_60:                               ;   in Loop: Header=BB6_46 Depth=1
	s_mov_b64 s[10:11], s[0:1]
	s_mov_b32 s15, 0
	s_cbranch_execnz .LBB6_62
.LBB6_61:                               ;   in Loop: Header=BB6_46 Depth=1
	global_load_dwordx2 v[12:13], v28, s[0:1]
	s_add_i32 s15, s14, -8
.LBB6_62:                               ;   in Loop: Header=BB6_46 Depth=1
	s_add_u32 s0, s10, 8
	s_addc_u32 s1, s11, 0
	s_cmp_gt_u32 s15, 7
	s_cbranch_scc1 .LBB6_66
; %bb.63:                               ;   in Loop: Header=BB6_46 Depth=1
	s_cmp_eq_u32 s15, 0
	s_cbranch_scc1 .LBB6_67
; %bb.64:                               ;   in Loop: Header=BB6_46 Depth=1
	v_mov_b32_e32 v14, 0
	s_mov_b64 s[0:1], 0
	v_mov_b32_e32 v15, 0
	s_mov_b64 s[12:13], 0
.LBB6_65:                               ;   Parent Loop BB6_46 Depth=1
                                        ; =>  This Inner Loop Header: Depth=2
	s_add_u32 s16, s10, s12
	s_addc_u32 s17, s11, s13
	global_load_ubyte v2, v28, s[16:17]
	s_add_u32 s12, s12, 1
	s_addc_u32 s13, s13, 0
	s_waitcnt vmcnt(0)
	v_and_b32_e32 v27, 0xffff, v2
	v_lshlrev_b64 v[2:3], s0, v[27:28]
	s_add_u32 s0, s0, 8
	s_addc_u32 s1, s1, 0
	v_or_b32_e32 v14, v2, v14
	s_cmp_lg_u32 s15, s12
	v_or_b32_e32 v15, v3, v15
	s_cbranch_scc1 .LBB6_65
	s_branch .LBB6_68
.LBB6_66:                               ;   in Loop: Header=BB6_46 Depth=1
	s_mov_b32 s14, 0
	s_branch .LBB6_69
.LBB6_67:                               ;   in Loop: Header=BB6_46 Depth=1
	v_mov_b32_e32 v14, 0
	v_mov_b32_e32 v15, 0
.LBB6_68:                               ;   in Loop: Header=BB6_46 Depth=1
	s_mov_b64 s[0:1], s[10:11]
	s_mov_b32 s14, 0
	s_cbranch_execnz .LBB6_70
.LBB6_69:                               ;   in Loop: Header=BB6_46 Depth=1
	global_load_dwordx2 v[14:15], v28, s[10:11]
	s_add_i32 s14, s15, -8
.LBB6_70:                               ;   in Loop: Header=BB6_46 Depth=1
	s_add_u32 s10, s0, 8
	s_addc_u32 s11, s1, 0
	s_cmp_gt_u32 s14, 7
	s_cbranch_scc1 .LBB6_74
; %bb.71:                               ;   in Loop: Header=BB6_46 Depth=1
	s_cmp_eq_u32 s14, 0
	s_cbranch_scc1 .LBB6_75
; %bb.72:                               ;   in Loop: Header=BB6_46 Depth=1
	v_mov_b32_e32 v16, 0
	s_mov_b64 s[10:11], 0
	v_mov_b32_e32 v17, 0
	s_mov_b64 s[12:13], 0
.LBB6_73:                               ;   Parent Loop BB6_46 Depth=1
                                        ; =>  This Inner Loop Header: Depth=2
	s_add_u32 s16, s0, s12
	s_addc_u32 s17, s1, s13
	global_load_ubyte v2, v28, s[16:17]
	s_add_u32 s12, s12, 1
	s_addc_u32 s13, s13, 0
	s_waitcnt vmcnt(0)
	v_and_b32_e32 v27, 0xffff, v2
	v_lshlrev_b64 v[2:3], s10, v[27:28]
	s_add_u32 s10, s10, 8
	s_addc_u32 s11, s11, 0
	v_or_b32_e32 v16, v2, v16
	s_cmp_lg_u32 s14, s12
	v_or_b32_e32 v17, v3, v17
	s_cbranch_scc1 .LBB6_73
	s_branch .LBB6_76
.LBB6_74:                               ;   in Loop: Header=BB6_46 Depth=1
                                        ; implicit-def: $vgpr16_vgpr17
	s_mov_b32 s15, 0
	s_branch .LBB6_77
.LBB6_75:                               ;   in Loop: Header=BB6_46 Depth=1
	v_mov_b32_e32 v16, 0
	v_mov_b32_e32 v17, 0
.LBB6_76:                               ;   in Loop: Header=BB6_46 Depth=1
	s_mov_b64 s[10:11], s[0:1]
	s_mov_b32 s15, 0
	s_cbranch_execnz .LBB6_78
.LBB6_77:                               ;   in Loop: Header=BB6_46 Depth=1
	global_load_dwordx2 v[16:17], v28, s[0:1]
	s_add_i32 s15, s14, -8
.LBB6_78:                               ;   in Loop: Header=BB6_46 Depth=1
	s_add_u32 s0, s10, 8
	s_addc_u32 s1, s11, 0
	s_cmp_gt_u32 s15, 7
	s_cbranch_scc1 .LBB6_82
; %bb.79:                               ;   in Loop: Header=BB6_46 Depth=1
	s_cmp_eq_u32 s15, 0
	s_cbranch_scc1 .LBB6_83
; %bb.80:                               ;   in Loop: Header=BB6_46 Depth=1
	v_mov_b32_e32 v18, 0
	s_mov_b64 s[0:1], 0
	v_mov_b32_e32 v19, 0
	s_mov_b64 s[12:13], 0
.LBB6_81:                               ;   Parent Loop BB6_46 Depth=1
                                        ; =>  This Inner Loop Header: Depth=2
	s_add_u32 s16, s10, s12
	s_addc_u32 s17, s11, s13
	global_load_ubyte v2, v28, s[16:17]
	s_add_u32 s12, s12, 1
	s_addc_u32 s13, s13, 0
	s_waitcnt vmcnt(0)
	v_and_b32_e32 v27, 0xffff, v2
	v_lshlrev_b64 v[2:3], s0, v[27:28]
	s_add_u32 s0, s0, 8
	s_addc_u32 s1, s1, 0
	v_or_b32_e32 v18, v2, v18
	s_cmp_lg_u32 s15, s12
	v_or_b32_e32 v19, v3, v19
	s_cbranch_scc1 .LBB6_81
	s_branch .LBB6_84
.LBB6_82:                               ;   in Loop: Header=BB6_46 Depth=1
	s_mov_b32 s14, 0
	s_branch .LBB6_85
.LBB6_83:                               ;   in Loop: Header=BB6_46 Depth=1
	v_mov_b32_e32 v18, 0
	v_mov_b32_e32 v19, 0
.LBB6_84:                               ;   in Loop: Header=BB6_46 Depth=1
	s_mov_b64 s[0:1], s[10:11]
	s_mov_b32 s14, 0
	s_cbranch_execnz .LBB6_86
.LBB6_85:                               ;   in Loop: Header=BB6_46 Depth=1
	global_load_dwordx2 v[18:19], v28, s[10:11]
	s_add_i32 s14, s15, -8
.LBB6_86:                               ;   in Loop: Header=BB6_46 Depth=1
	s_add_u32 s10, s0, 8
	s_addc_u32 s11, s1, 0
	s_cmp_gt_u32 s14, 7
	s_cbranch_scc1 .LBB6_90
; %bb.87:                               ;   in Loop: Header=BB6_46 Depth=1
	s_cmp_eq_u32 s14, 0
	s_cbranch_scc1 .LBB6_91
; %bb.88:                               ;   in Loop: Header=BB6_46 Depth=1
	v_mov_b32_e32 v20, 0
	s_mov_b64 s[10:11], 0
	v_mov_b32_e32 v21, 0
	s_mov_b64 s[12:13], 0
.LBB6_89:                               ;   Parent Loop BB6_46 Depth=1
                                        ; =>  This Inner Loop Header: Depth=2
	s_add_u32 s16, s0, s12
	s_addc_u32 s17, s1, s13
	global_load_ubyte v2, v28, s[16:17]
	s_add_u32 s12, s12, 1
	s_addc_u32 s13, s13, 0
	s_waitcnt vmcnt(0)
	v_and_b32_e32 v27, 0xffff, v2
	v_lshlrev_b64 v[2:3], s10, v[27:28]
	s_add_u32 s10, s10, 8
	s_addc_u32 s11, s11, 0
	v_or_b32_e32 v20, v2, v20
	s_cmp_lg_u32 s14, s12
	v_or_b32_e32 v21, v3, v21
	s_cbranch_scc1 .LBB6_89
	s_branch .LBB6_92
.LBB6_90:                               ;   in Loop: Header=BB6_46 Depth=1
                                        ; implicit-def: $vgpr20_vgpr21
	s_mov_b32 s15, 0
	s_branch .LBB6_93
.LBB6_91:                               ;   in Loop: Header=BB6_46 Depth=1
	v_mov_b32_e32 v20, 0
	v_mov_b32_e32 v21, 0
.LBB6_92:                               ;   in Loop: Header=BB6_46 Depth=1
	s_mov_b64 s[10:11], s[0:1]
	s_mov_b32 s15, 0
	s_cbranch_execnz .LBB6_94
.LBB6_93:                               ;   in Loop: Header=BB6_46 Depth=1
	global_load_dwordx2 v[20:21], v28, s[0:1]
	s_add_i32 s15, s14, -8
.LBB6_94:                               ;   in Loop: Header=BB6_46 Depth=1
	s_cmp_gt_u32 s15, 7
	s_cbranch_scc1 .LBB6_98
; %bb.95:                               ;   in Loop: Header=BB6_46 Depth=1
	s_cmp_eq_u32 s15, 0
	s_cbranch_scc1 .LBB6_99
; %bb.96:                               ;   in Loop: Header=BB6_46 Depth=1
	v_mov_b32_e32 v22, 0
	s_mov_b64 s[0:1], 0
	v_mov_b32_e32 v23, 0
	s_mov_b64 s[12:13], s[10:11]
.LBB6_97:                               ;   Parent Loop BB6_46 Depth=1
                                        ; =>  This Inner Loop Header: Depth=2
	global_load_ubyte v2, v28, s[12:13]
	s_add_i32 s15, s15, -1
	s_waitcnt vmcnt(0)
	v_and_b32_e32 v27, 0xffff, v2
	v_lshlrev_b64 v[2:3], s0, v[27:28]
	s_add_u32 s0, s0, 8
	s_addc_u32 s1, s1, 0
	s_add_u32 s12, s12, 1
	s_addc_u32 s13, s13, 0
	v_or_b32_e32 v22, v2, v22
	s_cmp_lg_u32 s15, 0
	v_or_b32_e32 v23, v3, v23
	s_cbranch_scc1 .LBB6_97
	s_branch .LBB6_100
.LBB6_98:                               ;   in Loop: Header=BB6_46 Depth=1
	s_branch .LBB6_101
.LBB6_99:                               ;   in Loop: Header=BB6_46 Depth=1
	v_mov_b32_e32 v22, 0
	v_mov_b32_e32 v23, 0
.LBB6_100:                              ;   in Loop: Header=BB6_46 Depth=1
	s_cbranch_execnz .LBB6_102
.LBB6_101:                              ;   in Loop: Header=BB6_46 Depth=1
	global_load_dwordx2 v[22:23], v28, s[10:11]
.LBB6_102:                              ;   in Loop: Header=BB6_46 Depth=1
	v_readfirstlane_b32 s0, v32
	v_mov_b32_e32 v2, 0
	v_mov_b32_e32 v3, 0
	v_cmp_eq_u32_e64 s[0:1], s0, v32
	s_and_saveexec_b64 s[10:11], s[0:1]
	s_cbranch_execz .LBB6_108
; %bb.103:                              ;   in Loop: Header=BB6_46 Depth=1
	global_load_dwordx2 v[26:27], v28, s[2:3] offset:24 glc
	s_waitcnt vmcnt(0)
	buffer_wbinvl1_vol
	global_load_dwordx2 v[2:3], v28, s[2:3] offset:40
	global_load_dwordx2 v[8:9], v28, s[2:3]
	s_waitcnt vmcnt(1)
	v_and_b32_e32 v2, v2, v26
	v_and_b32_e32 v3, v3, v27
	v_mul_lo_u32 v3, v3, 24
	v_mul_hi_u32 v24, v2, 24
	v_mul_lo_u32 v2, v2, 24
	v_add_u32_e32 v3, v24, v3
	s_waitcnt vmcnt(0)
	v_add_co_u32_e32 v2, vcc, v8, v2
	v_addc_co_u32_e32 v3, vcc, v9, v3, vcc
	global_load_dwordx2 v[24:25], v[2:3], off glc
	s_waitcnt vmcnt(0)
	global_atomic_cmpswap_x2 v[2:3], v28, v[24:27], s[2:3] offset:24 glc
	s_waitcnt vmcnt(0)
	buffer_wbinvl1_vol
	v_cmp_ne_u64_e32 vcc, v[2:3], v[26:27]
	s_and_saveexec_b64 s[12:13], vcc
	s_cbranch_execz .LBB6_107
; %bb.104:                              ;   in Loop: Header=BB6_46 Depth=1
	s_mov_b64 s[14:15], 0
.LBB6_105:                              ;   Parent Loop BB6_46 Depth=1
                                        ; =>  This Inner Loop Header: Depth=2
	s_sleep 1
	global_load_dwordx2 v[8:9], v28, s[2:3] offset:40
	global_load_dwordx2 v[24:25], v28, s[2:3]
	v_mov_b32_e32 v27, v3
	v_mov_b32_e32 v26, v2
	s_waitcnt vmcnt(1)
	v_and_b32_e32 v2, v8, v26
	s_waitcnt vmcnt(0)
	v_mad_u64_u32 v[2:3], s[16:17], v2, 24, v[24:25]
	v_and_b32_e32 v8, v9, v27
	v_mad_u64_u32 v[8:9], s[16:17], v8, 24, v[3:4]
	v_mov_b32_e32 v3, v8
	global_load_dwordx2 v[24:25], v[2:3], off glc
	s_waitcnt vmcnt(0)
	global_atomic_cmpswap_x2 v[2:3], v28, v[24:27], s[2:3] offset:24 glc
	s_waitcnt vmcnt(0)
	buffer_wbinvl1_vol
	v_cmp_eq_u64_e32 vcc, v[2:3], v[26:27]
	s_or_b64 s[14:15], vcc, s[14:15]
	s_andn2_b64 exec, exec, s[14:15]
	s_cbranch_execnz .LBB6_105
; %bb.106:                              ;   in Loop: Header=BB6_46 Depth=1
	s_or_b64 exec, exec, s[14:15]
.LBB6_107:                              ;   in Loop: Header=BB6_46 Depth=1
	s_or_b64 exec, exec, s[12:13]
.LBB6_108:                              ;   in Loop: Header=BB6_46 Depth=1
	s_or_b64 exec, exec, s[10:11]
	global_load_dwordx2 v[8:9], v28, s[2:3] offset:40
	global_load_dwordx4 v[24:27], v28, s[2:3]
	v_readfirstlane_b32 s11, v3
	v_readfirstlane_b32 s10, v2
	s_mov_b64 s[12:13], exec
	s_waitcnt vmcnt(1)
	v_readfirstlane_b32 s14, v8
	v_readfirstlane_b32 s15, v9
	s_and_b64 s[14:15], s[14:15], s[10:11]
	s_mul_i32 s16, s15, 24
	s_mul_hi_u32 s17, s14, 24
	s_mul_i32 s18, s14, 24
	s_add_i32 s16, s17, s16
	v_mov_b32_e32 v2, s16
	s_waitcnt vmcnt(0)
	v_add_co_u32_e32 v29, vcc, s18, v24
	v_addc_co_u32_e32 v30, vcc, v25, v2, vcc
	s_and_saveexec_b64 s[16:17], s[0:1]
	s_cbranch_execz .LBB6_110
; %bb.109:                              ;   in Loop: Header=BB6_46 Depth=1
	v_mov_b32_e32 v8, s12
	v_mov_b32_e32 v9, s13
	global_store_dwordx4 v[29:30], v[8:11], off offset:8
.LBB6_110:                              ;   in Loop: Header=BB6_46 Depth=1
	s_or_b64 exec, exec, s[16:17]
	s_lshl_b64 s[12:13], s[14:15], 12
	v_mov_b32_e32 v2, s13
	v_add_co_u32_e32 v8, vcc, s12, v26
	v_addc_co_u32_e32 v9, vcc, v27, v2, vcc
	v_cmp_lt_u64_e64 vcc, s[4:5], 57
	s_lshl_b32 s12, s8, 2
	v_cndmask_b32_e32 v2, 0, v33, vcc
	s_add_i32 s12, s12, 28
	v_and_b32_e32 v3, 0xffffff1f, v4
	s_and_b32 s12, s12, 0x1e0
	v_or_b32_e32 v2, v3, v2
	v_or_b32_e32 v4, s12, v2
	v_readfirstlane_b32 s12, v8
	v_readfirstlane_b32 s13, v9
	s_nop 4
	global_store_dwordx4 v31, v[4:7], s[12:13]
	global_store_dwordx4 v31, v[12:15], s[12:13] offset:16
	global_store_dwordx4 v31, v[16:19], s[12:13] offset:32
	;; [unrolled: 1-line block ×3, first 2 shown]
	s_and_saveexec_b64 s[12:13], s[0:1]
	s_cbranch_execz .LBB6_118
; %bb.111:                              ;   in Loop: Header=BB6_46 Depth=1
	global_load_dwordx2 v[14:15], v28, s[2:3] offset:32 glc
	global_load_dwordx2 v[2:3], v28, s[2:3] offset:40
	v_mov_b32_e32 v12, s10
	v_mov_b32_e32 v13, s11
	s_waitcnt vmcnt(0)
	v_readfirstlane_b32 s14, v2
	v_readfirstlane_b32 s15, v3
	s_and_b64 s[14:15], s[14:15], s[10:11]
	s_mul_i32 s15, s15, 24
	s_mul_hi_u32 s16, s14, 24
	s_mul_i32 s14, s14, 24
	s_add_i32 s15, s16, s15
	v_mov_b32_e32 v2, s15
	v_add_co_u32_e32 v6, vcc, s14, v24
	v_addc_co_u32_e32 v7, vcc, v25, v2, vcc
	global_store_dwordx2 v[6:7], v[14:15], off
	s_waitcnt vmcnt(0)
	global_atomic_cmpswap_x2 v[4:5], v28, v[12:15], s[2:3] offset:32 glc
	s_waitcnt vmcnt(0)
	v_cmp_ne_u64_e32 vcc, v[4:5], v[14:15]
	s_and_saveexec_b64 s[14:15], vcc
	s_cbranch_execz .LBB6_114
; %bb.112:                              ;   in Loop: Header=BB6_46 Depth=1
	s_mov_b64 s[16:17], 0
.LBB6_113:                              ;   Parent Loop BB6_46 Depth=1
                                        ; =>  This Inner Loop Header: Depth=2
	s_sleep 1
	global_store_dwordx2 v[6:7], v[4:5], off
	v_mov_b32_e32 v2, s10
	v_mov_b32_e32 v3, s11
	s_waitcnt vmcnt(0)
	global_atomic_cmpswap_x2 v[2:3], v28, v[2:5], s[2:3] offset:32 glc
	s_waitcnt vmcnt(0)
	v_cmp_eq_u64_e32 vcc, v[2:3], v[4:5]
	v_mov_b32_e32 v5, v3
	s_or_b64 s[16:17], vcc, s[16:17]
	v_mov_b32_e32 v4, v2
	s_andn2_b64 exec, exec, s[16:17]
	s_cbranch_execnz .LBB6_113
.LBB6_114:                              ;   in Loop: Header=BB6_46 Depth=1
	s_or_b64 exec, exec, s[14:15]
	global_load_dwordx2 v[2:3], v28, s[2:3] offset:16
	s_mov_b64 s[16:17], exec
	v_mbcnt_lo_u32_b32 v4, s16, 0
	v_mbcnt_hi_u32_b32 v4, s17, v4
	v_cmp_eq_u32_e32 vcc, 0, v4
	s_and_saveexec_b64 s[14:15], vcc
	s_cbranch_execz .LBB6_116
; %bb.115:                              ;   in Loop: Header=BB6_46 Depth=1
	s_bcnt1_i32_b64 s16, s[16:17]
	v_mov_b32_e32 v27, s16
	s_waitcnt vmcnt(0)
	global_atomic_add_x2 v[2:3], v[27:28], off offset:8
.LBB6_116:                              ;   in Loop: Header=BB6_46 Depth=1
	s_or_b64 exec, exec, s[14:15]
	s_waitcnt vmcnt(0)
	global_load_dwordx2 v[4:5], v[2:3], off offset:16
	s_waitcnt vmcnt(0)
	v_cmp_eq_u64_e32 vcc, 0, v[4:5]
	s_cbranch_vccnz .LBB6_118
; %bb.117:                              ;   in Loop: Header=BB6_46 Depth=1
	global_load_dword v27, v[2:3], off offset:24
	s_waitcnt vmcnt(0)
	v_readfirstlane_b32 s14, v27
	s_and_b32 m0, s14, 0xffffff
	global_store_dwordx2 v[4:5], v[27:28], off
	s_sendmsg sendmsg(MSG_INTERRUPT)
.LBB6_118:                              ;   in Loop: Header=BB6_46 Depth=1
	s_or_b64 exec, exec, s[12:13]
	v_add_co_u32_e32 v2, vcc, v8, v31
	v_addc_co_u32_e32 v3, vcc, 0, v9, vcc
	s_branch .LBB6_122
.LBB6_119:                              ;   in Loop: Header=BB6_122 Depth=2
	s_or_b64 exec, exec, s[12:13]
	v_readfirstlane_b32 s12, v4
	s_cmp_eq_u32 s12, 0
	s_cbranch_scc1 .LBB6_121
; %bb.120:                              ;   in Loop: Header=BB6_122 Depth=2
	s_sleep 1
	s_cbranch_execnz .LBB6_122
	s_branch .LBB6_124
.LBB6_121:                              ;   in Loop: Header=BB6_46 Depth=1
	s_branch .LBB6_124
.LBB6_122:                              ;   Parent Loop BB6_46 Depth=1
                                        ; =>  This Inner Loop Header: Depth=2
	v_mov_b32_e32 v4, 1
	s_and_saveexec_b64 s[12:13], s[0:1]
	s_cbranch_execz .LBB6_119
; %bb.123:                              ;   in Loop: Header=BB6_122 Depth=2
	global_load_dword v4, v[29:30], off offset:20 glc
	s_waitcnt vmcnt(0)
	buffer_wbinvl1_vol
	v_and_b32_e32 v4, 1, v4
	s_branch .LBB6_119
.LBB6_124:                              ;   in Loop: Header=BB6_46 Depth=1
	global_load_dwordx2 v[4:5], v[2:3], off
	s_and_saveexec_b64 s[12:13], s[0:1]
	s_cbranch_execz .LBB6_45
; %bb.125:                              ;   in Loop: Header=BB6_46 Depth=1
	global_load_dwordx2 v[2:3], v28, s[2:3] offset:40
	global_load_dwordx2 v[14:15], v28, s[2:3] offset:24 glc
	global_load_dwordx2 v[6:7], v28, s[2:3]
	s_waitcnt vmcnt(2)
	v_readfirstlane_b32 s14, v2
	v_readfirstlane_b32 s15, v3
	s_add_u32 s16, s14, 1
	s_addc_u32 s17, s15, 0
	s_add_u32 s0, s16, s10
	s_addc_u32 s1, s17, s11
	s_cmp_eq_u64 s[0:1], 0
	s_cselect_b32 s1, s17, s1
	s_cselect_b32 s0, s16, s0
	s_and_b64 s[10:11], s[0:1], s[14:15]
	s_mul_i32 s11, s11, 24
	s_mul_hi_u32 s14, s10, 24
	s_mul_i32 s10, s10, 24
	s_add_i32 s11, s14, s11
	v_mov_b32_e32 v3, s11
	s_waitcnt vmcnt(0)
	v_add_co_u32_e32 v2, vcc, s10, v6
	v_addc_co_u32_e32 v3, vcc, v7, v3, vcc
	v_mov_b32_e32 v12, s0
	global_store_dwordx2 v[2:3], v[14:15], off
	v_mov_b32_e32 v13, s1
	s_waitcnt vmcnt(0)
	global_atomic_cmpswap_x2 v[8:9], v28, v[12:15], s[2:3] offset:24 glc
	s_waitcnt vmcnt(0)
	v_cmp_ne_u64_e32 vcc, v[8:9], v[14:15]
	s_and_b64 exec, exec, vcc
	s_cbranch_execz .LBB6_45
; %bb.126:                              ;   in Loop: Header=BB6_46 Depth=1
	s_mov_b64 s[10:11], 0
.LBB6_127:                              ;   Parent Loop BB6_46 Depth=1
                                        ; =>  This Inner Loop Header: Depth=2
	s_sleep 1
	global_store_dwordx2 v[2:3], v[8:9], off
	v_mov_b32_e32 v6, s0
	v_mov_b32_e32 v7, s1
	s_waitcnt vmcnt(0)
	global_atomic_cmpswap_x2 v[6:7], v28, v[6:9], s[2:3] offset:24 glc
	s_waitcnt vmcnt(0)
	v_cmp_eq_u64_e32 vcc, v[6:7], v[8:9]
	v_mov_b32_e32 v9, v7
	s_or_b64 s[10:11], vcc, s[10:11]
	v_mov_b32_e32 v8, v6
	s_andn2_b64 exec, exec, s[10:11]
	s_cbranch_execnz .LBB6_127
	s_branch .LBB6_45
.LBB6_128:
	s_mov_b64 s[0:1], -1
                                        ; implicit-def: $vgpr4_vgpr5
	s_branch .LBB6_130
.LBB6_129:
	s_mov_b64 s[0:1], 0
.LBB6_130:
	s_and_b64 vcc, exec, s[0:1]
	s_cbranch_vccz .LBB6_157
; %bb.131:
	v_readfirstlane_b32 s0, v32
	v_mov_b32_e32 v8, 0
	v_mov_b32_e32 v9, 0
	v_cmp_eq_u32_e64 s[0:1], s0, v32
	s_and_saveexec_b64 s[4:5], s[0:1]
	s_cbranch_execz .LBB6_137
; %bb.132:
	v_mov_b32_e32 v2, 0
	global_load_dwordx2 v[5:6], v2, s[2:3] offset:24 glc
	s_waitcnt vmcnt(0)
	buffer_wbinvl1_vol
	global_load_dwordx2 v[3:4], v2, s[2:3] offset:40
	global_load_dwordx2 v[7:8], v2, s[2:3]
	s_waitcnt vmcnt(1)
	v_and_b32_e32 v3, v3, v5
	v_and_b32_e32 v4, v4, v6
	v_mul_lo_u32 v4, v4, 24
	v_mul_hi_u32 v9, v3, 24
	v_mul_lo_u32 v3, v3, 24
	v_add_u32_e32 v4, v9, v4
	s_waitcnt vmcnt(0)
	v_add_co_u32_e32 v3, vcc, v7, v3
	v_addc_co_u32_e32 v4, vcc, v8, v4, vcc
	global_load_dwordx2 v[3:4], v[3:4], off glc
	s_waitcnt vmcnt(0)
	global_atomic_cmpswap_x2 v[8:9], v2, v[3:6], s[2:3] offset:24 glc
	s_waitcnt vmcnt(0)
	buffer_wbinvl1_vol
	v_cmp_ne_u64_e32 vcc, v[8:9], v[5:6]
	s_and_saveexec_b64 s[6:7], vcc
	s_cbranch_execz .LBB6_136
; %bb.133:
	s_mov_b64 s[8:9], 0
.LBB6_134:                              ; =>This Inner Loop Header: Depth=1
	s_sleep 1
	global_load_dwordx2 v[3:4], v2, s[2:3] offset:40
	global_load_dwordx2 v[10:11], v2, s[2:3]
	v_mov_b32_e32 v5, v8
	v_mov_b32_e32 v6, v9
	s_waitcnt vmcnt(1)
	v_and_b32_e32 v3, v3, v5
	s_waitcnt vmcnt(0)
	v_mad_u64_u32 v[7:8], s[10:11], v3, 24, v[10:11]
	v_and_b32_e32 v4, v4, v6
	v_mov_b32_e32 v3, v8
	v_mad_u64_u32 v[3:4], s[10:11], v4, 24, v[3:4]
	v_mov_b32_e32 v8, v3
	global_load_dwordx2 v[3:4], v[7:8], off glc
	s_waitcnt vmcnt(0)
	global_atomic_cmpswap_x2 v[8:9], v2, v[3:6], s[2:3] offset:24 glc
	s_waitcnt vmcnt(0)
	buffer_wbinvl1_vol
	v_cmp_eq_u64_e32 vcc, v[8:9], v[5:6]
	s_or_b64 s[8:9], vcc, s[8:9]
	s_andn2_b64 exec, exec, s[8:9]
	s_cbranch_execnz .LBB6_134
; %bb.135:
	s_or_b64 exec, exec, s[8:9]
.LBB6_136:
	s_or_b64 exec, exec, s[6:7]
.LBB6_137:
	s_or_b64 exec, exec, s[4:5]
	v_mov_b32_e32 v2, 0
	global_load_dwordx2 v[10:11], v2, s[2:3] offset:40
	global_load_dwordx4 v[4:7], v2, s[2:3]
	v_readfirstlane_b32 s5, v9
	v_readfirstlane_b32 s4, v8
	s_mov_b64 s[6:7], exec
	s_waitcnt vmcnt(1)
	v_readfirstlane_b32 s8, v10
	v_readfirstlane_b32 s9, v11
	s_and_b64 s[8:9], s[8:9], s[4:5]
	s_mul_i32 s10, s9, 24
	s_mul_hi_u32 s11, s8, 24
	s_mul_i32 s12, s8, 24
	s_add_i32 s10, s11, s10
	v_mov_b32_e32 v3, s10
	s_waitcnt vmcnt(0)
	v_add_co_u32_e32 v8, vcc, s12, v4
	v_addc_co_u32_e32 v9, vcc, v5, v3, vcc
	s_and_saveexec_b64 s[10:11], s[0:1]
	s_cbranch_execz .LBB6_139
; %bb.138:
	v_mov_b32_e32 v11, s7
	v_mov_b32_e32 v10, s6
	;; [unrolled: 1-line block ×4, first 2 shown]
	global_store_dwordx4 v[8:9], v[10:13], off offset:8
.LBB6_139:
	s_or_b64 exec, exec, s[10:11]
	s_lshl_b64 s[6:7], s[8:9], 12
	v_mov_b32_e32 v3, s7
	v_add_co_u32_e32 v10, vcc, s6, v6
	v_addc_co_u32_e32 v11, vcc, v7, v3, vcc
	s_movk_i32 s6, 0xff1f
	v_and_or_b32 v0, v0, s6, 32
	s_mov_b32 s8, 0
	v_mov_b32_e32 v3, v2
	v_readfirstlane_b32 s6, v10
	v_readfirstlane_b32 s7, v11
	v_add_co_u32_e32 v6, vcc, v10, v31
	s_mov_b32 s9, s8
	s_mov_b32 s10, s8
	;; [unrolled: 1-line block ×3, first 2 shown]
	s_nop 0
	global_store_dwordx4 v31, v[0:3], s[6:7]
	v_addc_co_u32_e32 v7, vcc, 0, v11, vcc
	v_mov_b32_e32 v0, s8
	v_mov_b32_e32 v1, s9
	;; [unrolled: 1-line block ×4, first 2 shown]
	global_store_dwordx4 v31, v[0:3], s[6:7] offset:16
	global_store_dwordx4 v31, v[0:3], s[6:7] offset:32
	;; [unrolled: 1-line block ×3, first 2 shown]
	s_and_saveexec_b64 s[6:7], s[0:1]
	s_cbranch_execz .LBB6_147
; %bb.140:
	v_mov_b32_e32 v10, 0
	global_load_dwordx2 v[13:14], v10, s[2:3] offset:32 glc
	global_load_dwordx2 v[0:1], v10, s[2:3] offset:40
	v_mov_b32_e32 v11, s4
	v_mov_b32_e32 v12, s5
	s_waitcnt vmcnt(0)
	v_readfirstlane_b32 s8, v0
	v_readfirstlane_b32 s9, v1
	s_and_b64 s[8:9], s[8:9], s[4:5]
	s_mul_i32 s9, s9, 24
	s_mul_hi_u32 s10, s8, 24
	s_mul_i32 s8, s8, 24
	s_add_i32 s9, s10, s9
	v_mov_b32_e32 v0, s9
	v_add_co_u32_e32 v4, vcc, s8, v4
	v_addc_co_u32_e32 v5, vcc, v5, v0, vcc
	global_store_dwordx2 v[4:5], v[13:14], off
	s_waitcnt vmcnt(0)
	global_atomic_cmpswap_x2 v[2:3], v10, v[11:14], s[2:3] offset:32 glc
	s_waitcnt vmcnt(0)
	v_cmp_ne_u64_e32 vcc, v[2:3], v[13:14]
	s_and_saveexec_b64 s[8:9], vcc
	s_cbranch_execz .LBB6_143
; %bb.141:
	s_mov_b64 s[10:11], 0
.LBB6_142:                              ; =>This Inner Loop Header: Depth=1
	s_sleep 1
	global_store_dwordx2 v[4:5], v[2:3], off
	v_mov_b32_e32 v0, s4
	v_mov_b32_e32 v1, s5
	s_waitcnt vmcnt(0)
	global_atomic_cmpswap_x2 v[0:1], v10, v[0:3], s[2:3] offset:32 glc
	s_waitcnt vmcnt(0)
	v_cmp_eq_u64_e32 vcc, v[0:1], v[2:3]
	v_mov_b32_e32 v3, v1
	s_or_b64 s[10:11], vcc, s[10:11]
	v_mov_b32_e32 v2, v0
	s_andn2_b64 exec, exec, s[10:11]
	s_cbranch_execnz .LBB6_142
.LBB6_143:
	s_or_b64 exec, exec, s[8:9]
	v_mov_b32_e32 v3, 0
	global_load_dwordx2 v[0:1], v3, s[2:3] offset:16
	s_mov_b64 s[8:9], exec
	v_mbcnt_lo_u32_b32 v2, s8, 0
	v_mbcnt_hi_u32_b32 v2, s9, v2
	v_cmp_eq_u32_e32 vcc, 0, v2
	s_and_saveexec_b64 s[10:11], vcc
	s_cbranch_execz .LBB6_145
; %bb.144:
	s_bcnt1_i32_b64 s8, s[8:9]
	v_mov_b32_e32 v2, s8
	s_waitcnt vmcnt(0)
	global_atomic_add_x2 v[0:1], v[2:3], off offset:8
.LBB6_145:
	s_or_b64 exec, exec, s[10:11]
	s_waitcnt vmcnt(0)
	global_load_dwordx2 v[2:3], v[0:1], off offset:16
	s_waitcnt vmcnt(0)
	v_cmp_eq_u64_e32 vcc, 0, v[2:3]
	s_cbranch_vccnz .LBB6_147
; %bb.146:
	global_load_dword v0, v[0:1], off offset:24
	v_mov_b32_e32 v1, 0
	s_waitcnt vmcnt(0)
	v_readfirstlane_b32 s8, v0
	s_and_b32 m0, s8, 0xffffff
	global_store_dwordx2 v[2:3], v[0:1], off
	s_sendmsg sendmsg(MSG_INTERRUPT)
.LBB6_147:
	s_or_b64 exec, exec, s[6:7]
	s_branch .LBB6_151
.LBB6_148:                              ;   in Loop: Header=BB6_151 Depth=1
	s_or_b64 exec, exec, s[6:7]
	v_readfirstlane_b32 s6, v0
	s_cmp_eq_u32 s6, 0
	s_cbranch_scc1 .LBB6_150
; %bb.149:                              ;   in Loop: Header=BB6_151 Depth=1
	s_sleep 1
	s_cbranch_execnz .LBB6_151
	s_branch .LBB6_153
.LBB6_150:
	s_branch .LBB6_153
.LBB6_151:                              ; =>This Inner Loop Header: Depth=1
	v_mov_b32_e32 v0, 1
	s_and_saveexec_b64 s[6:7], s[0:1]
	s_cbranch_execz .LBB6_148
; %bb.152:                              ;   in Loop: Header=BB6_151 Depth=1
	global_load_dword v0, v[8:9], off offset:20 glc
	s_waitcnt vmcnt(0)
	buffer_wbinvl1_vol
	v_and_b32_e32 v0, 1, v0
	s_branch .LBB6_148
.LBB6_153:
	global_load_dwordx2 v[4:5], v[6:7], off
	s_and_saveexec_b64 s[6:7], s[0:1]
	s_cbranch_execz .LBB6_156
; %bb.154:
	v_mov_b32_e32 v8, 0
	global_load_dwordx2 v[0:1], v8, s[2:3] offset:40
	global_load_dwordx2 v[11:12], v8, s[2:3] offset:24 glc
	global_load_dwordx2 v[2:3], v8, s[2:3]
	s_waitcnt vmcnt(2)
	v_readfirstlane_b32 s8, v0
	v_readfirstlane_b32 s9, v1
	s_add_u32 s10, s8, 1
	s_addc_u32 s11, s9, 0
	s_add_u32 s0, s10, s4
	s_addc_u32 s1, s11, s5
	s_cmp_eq_u64 s[0:1], 0
	s_cselect_b32 s1, s11, s1
	s_cselect_b32 s0, s10, s0
	s_and_b64 s[4:5], s[0:1], s[8:9]
	s_mul_i32 s5, s5, 24
	s_mul_hi_u32 s8, s4, 24
	s_mul_i32 s4, s4, 24
	s_add_i32 s5, s8, s5
	v_mov_b32_e32 v0, s5
	s_waitcnt vmcnt(0)
	v_add_co_u32_e32 v6, vcc, s4, v2
	v_addc_co_u32_e32 v7, vcc, v3, v0, vcc
	v_mov_b32_e32 v9, s0
	global_store_dwordx2 v[6:7], v[11:12], off
	v_mov_b32_e32 v10, s1
	s_waitcnt vmcnt(0)
	global_atomic_cmpswap_x2 v[2:3], v8, v[9:12], s[2:3] offset:24 glc
	s_mov_b64 s[4:5], 0
	s_waitcnt vmcnt(0)
	v_cmp_ne_u64_e32 vcc, v[2:3], v[11:12]
	s_and_b64 exec, exec, vcc
	s_cbranch_execz .LBB6_156
.LBB6_155:                              ; =>This Inner Loop Header: Depth=1
	s_sleep 1
	global_store_dwordx2 v[6:7], v[2:3], off
	v_mov_b32_e32 v0, s0
	v_mov_b32_e32 v1, s1
	s_waitcnt vmcnt(0)
	global_atomic_cmpswap_x2 v[0:1], v8, v[0:3], s[2:3] offset:24 glc
	s_waitcnt vmcnt(0)
	v_cmp_eq_u64_e32 vcc, v[0:1], v[2:3]
	v_mov_b32_e32 v3, v1
	s_or_b64 s[4:5], vcc, s[4:5]
	v_mov_b32_e32 v2, v0
	s_andn2_b64 exec, exec, s[4:5]
	s_cbranch_execnz .LBB6_155
.LBB6_156:
	s_or_b64 exec, exec, s[6:7]
.LBB6_157:
	s_getpc_b64 s[4:5]
	s_add_u32 s4, s4, .str.1@rel32@lo+4
	s_addc_u32 s5, s5, .str.1@rel32@hi+12
	s_cmp_lg_u64 s[4:5], 0
	s_cbranch_scc0 .LBB6_242
; %bb.158:
	s_waitcnt vmcnt(0)
	v_and_b32_e32 v29, 2, v4
	v_mov_b32_e32 v26, 0
	v_and_b32_e32 v0, -3, v4
	v_mov_b32_e32 v1, v5
	s_mov_b64 s[6:7], 0x61
	v_mov_b32_e32 v8, 2
	v_mov_b32_e32 v9, 1
	s_branch .LBB6_160
.LBB6_159:                              ;   in Loop: Header=BB6_160 Depth=1
	s_or_b64 exec, exec, s[12:13]
	s_sub_u32 s6, s6, s8
	s_subb_u32 s7, s7, s9
	s_add_u32 s4, s4, s8
	s_addc_u32 s5, s5, s9
	s_cmp_lg_u64 s[6:7], 0
	s_cbranch_scc0 .LBB6_243
.LBB6_160:                              ; =>This Loop Header: Depth=1
                                        ;     Child Loop BB6_163 Depth 2
                                        ;     Child Loop BB6_171 Depth 2
	;; [unrolled: 1-line block ×11, first 2 shown]
	v_cmp_lt_u64_e64 s[0:1], s[6:7], 56
	v_cmp_gt_u64_e64 s[10:11], s[6:7], 7
	s_and_b64 s[0:1], s[0:1], exec
	s_cselect_b32 s9, s7, 0
	s_cselect_b32 s8, s6, 56
	s_add_u32 s0, s4, 8
	s_addc_u32 s1, s5, 0
	s_and_b64 vcc, exec, s[10:11]
	s_cbranch_vccnz .LBB6_164
; %bb.161:                              ;   in Loop: Header=BB6_160 Depth=1
	s_cmp_eq_u64 s[6:7], 0
	s_cbranch_scc1 .LBB6_165
; %bb.162:                              ;   in Loop: Header=BB6_160 Depth=1
	v_mov_b32_e32 v2, 0
	s_lshl_b64 s[0:1], s[8:9], 3
	s_mov_b64 s[10:11], 0
	v_mov_b32_e32 v3, 0
	s_mov_b64 s[12:13], s[4:5]
.LBB6_163:                              ;   Parent Loop BB6_160 Depth=1
                                        ; =>  This Inner Loop Header: Depth=2
	global_load_ubyte v6, v26, s[12:13]
	s_waitcnt vmcnt(0)
	v_and_b32_e32 v25, 0xffff, v6
	v_lshlrev_b64 v[6:7], s10, v[25:26]
	s_add_u32 s10, s10, 8
	s_addc_u32 s11, s11, 0
	s_add_u32 s12, s12, 1
	s_addc_u32 s13, s13, 0
	v_or_b32_e32 v2, v6, v2
	s_cmp_lg_u32 s0, s10
	v_or_b32_e32 v3, v7, v3
	s_cbranch_scc1 .LBB6_163
	s_branch .LBB6_166
.LBB6_164:                              ;   in Loop: Header=BB6_160 Depth=1
	s_mov_b32 s14, 0
	s_branch .LBB6_167
.LBB6_165:                              ;   in Loop: Header=BB6_160 Depth=1
	v_mov_b32_e32 v2, 0
	v_mov_b32_e32 v3, 0
.LBB6_166:                              ;   in Loop: Header=BB6_160 Depth=1
	s_mov_b64 s[0:1], s[4:5]
	s_mov_b32 s14, 0
	s_cbranch_execnz .LBB6_168
.LBB6_167:                              ;   in Loop: Header=BB6_160 Depth=1
	global_load_dwordx2 v[2:3], v26, s[4:5]
	s_add_i32 s14, s8, -8
.LBB6_168:                              ;   in Loop: Header=BB6_160 Depth=1
	s_add_u32 s10, s0, 8
	s_addc_u32 s11, s1, 0
	s_cmp_gt_u32 s14, 7
	s_cbranch_scc1 .LBB6_172
; %bb.169:                              ;   in Loop: Header=BB6_160 Depth=1
	s_cmp_eq_u32 s14, 0
	s_cbranch_scc1 .LBB6_173
; %bb.170:                              ;   in Loop: Header=BB6_160 Depth=1
	v_mov_b32_e32 v10, 0
	s_mov_b64 s[10:11], 0
	v_mov_b32_e32 v11, 0
	s_mov_b64 s[12:13], 0
.LBB6_171:                              ;   Parent Loop BB6_160 Depth=1
                                        ; =>  This Inner Loop Header: Depth=2
	s_add_u32 s16, s0, s12
	s_addc_u32 s17, s1, s13
	global_load_ubyte v6, v26, s[16:17]
	s_add_u32 s12, s12, 1
	s_addc_u32 s13, s13, 0
	s_waitcnt vmcnt(0)
	v_and_b32_e32 v25, 0xffff, v6
	v_lshlrev_b64 v[6:7], s10, v[25:26]
	s_add_u32 s10, s10, 8
	s_addc_u32 s11, s11, 0
	v_or_b32_e32 v10, v6, v10
	s_cmp_lg_u32 s14, s12
	v_or_b32_e32 v11, v7, v11
	s_cbranch_scc1 .LBB6_171
	s_branch .LBB6_174
.LBB6_172:                              ;   in Loop: Header=BB6_160 Depth=1
                                        ; implicit-def: $vgpr10_vgpr11
	s_mov_b32 s15, 0
	s_branch .LBB6_175
.LBB6_173:                              ;   in Loop: Header=BB6_160 Depth=1
	v_mov_b32_e32 v10, 0
	v_mov_b32_e32 v11, 0
.LBB6_174:                              ;   in Loop: Header=BB6_160 Depth=1
	s_mov_b64 s[10:11], s[0:1]
	s_mov_b32 s15, 0
	s_cbranch_execnz .LBB6_176
.LBB6_175:                              ;   in Loop: Header=BB6_160 Depth=1
	global_load_dwordx2 v[10:11], v26, s[0:1]
	s_add_i32 s15, s14, -8
.LBB6_176:                              ;   in Loop: Header=BB6_160 Depth=1
	s_add_u32 s0, s10, 8
	s_addc_u32 s1, s11, 0
	s_cmp_gt_u32 s15, 7
	s_cbranch_scc1 .LBB6_180
; %bb.177:                              ;   in Loop: Header=BB6_160 Depth=1
	s_cmp_eq_u32 s15, 0
	s_cbranch_scc1 .LBB6_181
; %bb.178:                              ;   in Loop: Header=BB6_160 Depth=1
	v_mov_b32_e32 v12, 0
	s_mov_b64 s[0:1], 0
	v_mov_b32_e32 v13, 0
	s_mov_b64 s[12:13], 0
.LBB6_179:                              ;   Parent Loop BB6_160 Depth=1
                                        ; =>  This Inner Loop Header: Depth=2
	s_add_u32 s16, s10, s12
	s_addc_u32 s17, s11, s13
	global_load_ubyte v6, v26, s[16:17]
	s_add_u32 s12, s12, 1
	s_addc_u32 s13, s13, 0
	s_waitcnt vmcnt(0)
	v_and_b32_e32 v25, 0xffff, v6
	v_lshlrev_b64 v[6:7], s0, v[25:26]
	s_add_u32 s0, s0, 8
	s_addc_u32 s1, s1, 0
	v_or_b32_e32 v12, v6, v12
	s_cmp_lg_u32 s15, s12
	v_or_b32_e32 v13, v7, v13
	s_cbranch_scc1 .LBB6_179
	s_branch .LBB6_182
.LBB6_180:                              ;   in Loop: Header=BB6_160 Depth=1
	s_mov_b32 s14, 0
	s_branch .LBB6_183
.LBB6_181:                              ;   in Loop: Header=BB6_160 Depth=1
	v_mov_b32_e32 v12, 0
	v_mov_b32_e32 v13, 0
.LBB6_182:                              ;   in Loop: Header=BB6_160 Depth=1
	s_mov_b64 s[0:1], s[10:11]
	s_mov_b32 s14, 0
	s_cbranch_execnz .LBB6_184
.LBB6_183:                              ;   in Loop: Header=BB6_160 Depth=1
	global_load_dwordx2 v[12:13], v26, s[10:11]
	s_add_i32 s14, s15, -8
.LBB6_184:                              ;   in Loop: Header=BB6_160 Depth=1
	s_add_u32 s10, s0, 8
	s_addc_u32 s11, s1, 0
	s_cmp_gt_u32 s14, 7
	s_cbranch_scc1 .LBB6_188
; %bb.185:                              ;   in Loop: Header=BB6_160 Depth=1
	s_cmp_eq_u32 s14, 0
	s_cbranch_scc1 .LBB6_189
; %bb.186:                              ;   in Loop: Header=BB6_160 Depth=1
	v_mov_b32_e32 v14, 0
	s_mov_b64 s[10:11], 0
	v_mov_b32_e32 v15, 0
	s_mov_b64 s[12:13], 0
.LBB6_187:                              ;   Parent Loop BB6_160 Depth=1
                                        ; =>  This Inner Loop Header: Depth=2
	s_add_u32 s16, s0, s12
	s_addc_u32 s17, s1, s13
	global_load_ubyte v6, v26, s[16:17]
	s_add_u32 s12, s12, 1
	s_addc_u32 s13, s13, 0
	s_waitcnt vmcnt(0)
	v_and_b32_e32 v25, 0xffff, v6
	v_lshlrev_b64 v[6:7], s10, v[25:26]
	s_add_u32 s10, s10, 8
	s_addc_u32 s11, s11, 0
	v_or_b32_e32 v14, v6, v14
	s_cmp_lg_u32 s14, s12
	v_or_b32_e32 v15, v7, v15
	s_cbranch_scc1 .LBB6_187
	s_branch .LBB6_190
.LBB6_188:                              ;   in Loop: Header=BB6_160 Depth=1
                                        ; implicit-def: $vgpr14_vgpr15
	s_mov_b32 s15, 0
	s_branch .LBB6_191
.LBB6_189:                              ;   in Loop: Header=BB6_160 Depth=1
	v_mov_b32_e32 v14, 0
	v_mov_b32_e32 v15, 0
.LBB6_190:                              ;   in Loop: Header=BB6_160 Depth=1
	s_mov_b64 s[10:11], s[0:1]
	s_mov_b32 s15, 0
	s_cbranch_execnz .LBB6_192
.LBB6_191:                              ;   in Loop: Header=BB6_160 Depth=1
	global_load_dwordx2 v[14:15], v26, s[0:1]
	s_add_i32 s15, s14, -8
.LBB6_192:                              ;   in Loop: Header=BB6_160 Depth=1
	s_add_u32 s0, s10, 8
	s_addc_u32 s1, s11, 0
	s_cmp_gt_u32 s15, 7
	s_cbranch_scc1 .LBB6_196
; %bb.193:                              ;   in Loop: Header=BB6_160 Depth=1
	s_cmp_eq_u32 s15, 0
	s_cbranch_scc1 .LBB6_197
; %bb.194:                              ;   in Loop: Header=BB6_160 Depth=1
	v_mov_b32_e32 v16, 0
	s_mov_b64 s[0:1], 0
	v_mov_b32_e32 v17, 0
	s_mov_b64 s[12:13], 0
.LBB6_195:                              ;   Parent Loop BB6_160 Depth=1
                                        ; =>  This Inner Loop Header: Depth=2
	s_add_u32 s16, s10, s12
	s_addc_u32 s17, s11, s13
	global_load_ubyte v6, v26, s[16:17]
	s_add_u32 s12, s12, 1
	s_addc_u32 s13, s13, 0
	s_waitcnt vmcnt(0)
	v_and_b32_e32 v25, 0xffff, v6
	v_lshlrev_b64 v[6:7], s0, v[25:26]
	s_add_u32 s0, s0, 8
	s_addc_u32 s1, s1, 0
	v_or_b32_e32 v16, v6, v16
	s_cmp_lg_u32 s15, s12
	v_or_b32_e32 v17, v7, v17
	s_cbranch_scc1 .LBB6_195
	s_branch .LBB6_198
.LBB6_196:                              ;   in Loop: Header=BB6_160 Depth=1
	s_mov_b32 s14, 0
	s_branch .LBB6_199
.LBB6_197:                              ;   in Loop: Header=BB6_160 Depth=1
	v_mov_b32_e32 v16, 0
	v_mov_b32_e32 v17, 0
.LBB6_198:                              ;   in Loop: Header=BB6_160 Depth=1
	s_mov_b64 s[0:1], s[10:11]
	s_mov_b32 s14, 0
	s_cbranch_execnz .LBB6_200
.LBB6_199:                              ;   in Loop: Header=BB6_160 Depth=1
	global_load_dwordx2 v[16:17], v26, s[10:11]
	s_add_i32 s14, s15, -8
.LBB6_200:                              ;   in Loop: Header=BB6_160 Depth=1
	s_add_u32 s10, s0, 8
	s_addc_u32 s11, s1, 0
	s_cmp_gt_u32 s14, 7
	s_cbranch_scc1 .LBB6_204
; %bb.201:                              ;   in Loop: Header=BB6_160 Depth=1
	s_cmp_eq_u32 s14, 0
	s_cbranch_scc1 .LBB6_205
; %bb.202:                              ;   in Loop: Header=BB6_160 Depth=1
	v_mov_b32_e32 v18, 0
	s_mov_b64 s[10:11], 0
	v_mov_b32_e32 v19, 0
	s_mov_b64 s[12:13], 0
.LBB6_203:                              ;   Parent Loop BB6_160 Depth=1
                                        ; =>  This Inner Loop Header: Depth=2
	s_add_u32 s16, s0, s12
	s_addc_u32 s17, s1, s13
	global_load_ubyte v6, v26, s[16:17]
	s_add_u32 s12, s12, 1
	s_addc_u32 s13, s13, 0
	s_waitcnt vmcnt(0)
	v_and_b32_e32 v25, 0xffff, v6
	v_lshlrev_b64 v[6:7], s10, v[25:26]
	s_add_u32 s10, s10, 8
	s_addc_u32 s11, s11, 0
	v_or_b32_e32 v18, v6, v18
	s_cmp_lg_u32 s14, s12
	v_or_b32_e32 v19, v7, v19
	s_cbranch_scc1 .LBB6_203
	s_branch .LBB6_206
.LBB6_204:                              ;   in Loop: Header=BB6_160 Depth=1
                                        ; implicit-def: $vgpr18_vgpr19
	s_mov_b32 s15, 0
	s_branch .LBB6_207
.LBB6_205:                              ;   in Loop: Header=BB6_160 Depth=1
	v_mov_b32_e32 v18, 0
	v_mov_b32_e32 v19, 0
.LBB6_206:                              ;   in Loop: Header=BB6_160 Depth=1
	s_mov_b64 s[10:11], s[0:1]
	s_mov_b32 s15, 0
	s_cbranch_execnz .LBB6_208
.LBB6_207:                              ;   in Loop: Header=BB6_160 Depth=1
	global_load_dwordx2 v[18:19], v26, s[0:1]
	s_add_i32 s15, s14, -8
.LBB6_208:                              ;   in Loop: Header=BB6_160 Depth=1
	s_cmp_gt_u32 s15, 7
	s_cbranch_scc1 .LBB6_212
; %bb.209:                              ;   in Loop: Header=BB6_160 Depth=1
	s_cmp_eq_u32 s15, 0
	s_cbranch_scc1 .LBB6_213
; %bb.210:                              ;   in Loop: Header=BB6_160 Depth=1
	v_mov_b32_e32 v20, 0
	s_mov_b64 s[0:1], 0
	v_mov_b32_e32 v21, 0
	s_mov_b64 s[12:13], s[10:11]
.LBB6_211:                              ;   Parent Loop BB6_160 Depth=1
                                        ; =>  This Inner Loop Header: Depth=2
	global_load_ubyte v6, v26, s[12:13]
	s_add_i32 s15, s15, -1
	s_waitcnt vmcnt(0)
	v_and_b32_e32 v25, 0xffff, v6
	v_lshlrev_b64 v[6:7], s0, v[25:26]
	s_add_u32 s0, s0, 8
	s_addc_u32 s1, s1, 0
	s_add_u32 s12, s12, 1
	s_addc_u32 s13, s13, 0
	v_or_b32_e32 v20, v6, v20
	s_cmp_lg_u32 s15, 0
	v_or_b32_e32 v21, v7, v21
	s_cbranch_scc1 .LBB6_211
	s_branch .LBB6_214
.LBB6_212:                              ;   in Loop: Header=BB6_160 Depth=1
	s_branch .LBB6_215
.LBB6_213:                              ;   in Loop: Header=BB6_160 Depth=1
	v_mov_b32_e32 v20, 0
	v_mov_b32_e32 v21, 0
.LBB6_214:                              ;   in Loop: Header=BB6_160 Depth=1
	s_cbranch_execnz .LBB6_216
.LBB6_215:                              ;   in Loop: Header=BB6_160 Depth=1
	global_load_dwordx2 v[20:21], v26, s[10:11]
.LBB6_216:                              ;   in Loop: Header=BB6_160 Depth=1
	v_readfirstlane_b32 s0, v32
	v_mov_b32_e32 v6, 0
	v_mov_b32_e32 v7, 0
	v_cmp_eq_u32_e64 s[0:1], s0, v32
	s_and_saveexec_b64 s[10:11], s[0:1]
	s_cbranch_execz .LBB6_222
; %bb.217:                              ;   in Loop: Header=BB6_160 Depth=1
	global_load_dwordx2 v[24:25], v26, s[2:3] offset:24 glc
	s_waitcnt vmcnt(0)
	buffer_wbinvl1_vol
	global_load_dwordx2 v[6:7], v26, s[2:3] offset:40
	global_load_dwordx2 v[22:23], v26, s[2:3]
	s_waitcnt vmcnt(1)
	v_and_b32_e32 v6, v6, v24
	v_and_b32_e32 v7, v7, v25
	v_mul_lo_u32 v7, v7, 24
	v_mul_hi_u32 v27, v6, 24
	v_mul_lo_u32 v6, v6, 24
	v_add_u32_e32 v7, v27, v7
	s_waitcnt vmcnt(0)
	v_add_co_u32_e32 v6, vcc, v22, v6
	v_addc_co_u32_e32 v7, vcc, v23, v7, vcc
	global_load_dwordx2 v[22:23], v[6:7], off glc
	s_waitcnt vmcnt(0)
	global_atomic_cmpswap_x2 v[6:7], v26, v[22:25], s[2:3] offset:24 glc
	s_waitcnt vmcnt(0)
	buffer_wbinvl1_vol
	v_cmp_ne_u64_e32 vcc, v[6:7], v[24:25]
	s_and_saveexec_b64 s[12:13], vcc
	s_cbranch_execz .LBB6_221
; %bb.218:                              ;   in Loop: Header=BB6_160 Depth=1
	s_mov_b64 s[14:15], 0
.LBB6_219:                              ;   Parent Loop BB6_160 Depth=1
                                        ; =>  This Inner Loop Header: Depth=2
	s_sleep 1
	global_load_dwordx2 v[22:23], v26, s[2:3] offset:40
	global_load_dwordx2 v[27:28], v26, s[2:3]
	v_mov_b32_e32 v25, v7
	v_mov_b32_e32 v24, v6
	s_waitcnt vmcnt(1)
	v_and_b32_e32 v6, v22, v24
	s_waitcnt vmcnt(0)
	v_mad_u64_u32 v[6:7], s[16:17], v6, 24, v[27:28]
	v_and_b32_e32 v22, v23, v25
	v_mad_u64_u32 v[22:23], s[16:17], v22, 24, v[7:8]
	v_mov_b32_e32 v7, v22
	global_load_dwordx2 v[22:23], v[6:7], off glc
	s_waitcnt vmcnt(0)
	global_atomic_cmpswap_x2 v[6:7], v26, v[22:25], s[2:3] offset:24 glc
	s_waitcnt vmcnt(0)
	buffer_wbinvl1_vol
	v_cmp_eq_u64_e32 vcc, v[6:7], v[24:25]
	s_or_b64 s[14:15], vcc, s[14:15]
	s_andn2_b64 exec, exec, s[14:15]
	s_cbranch_execnz .LBB6_219
; %bb.220:                              ;   in Loop: Header=BB6_160 Depth=1
	s_or_b64 exec, exec, s[14:15]
.LBB6_221:                              ;   in Loop: Header=BB6_160 Depth=1
	s_or_b64 exec, exec, s[12:13]
.LBB6_222:                              ;   in Loop: Header=BB6_160 Depth=1
	s_or_b64 exec, exec, s[10:11]
	global_load_dwordx2 v[27:28], v26, s[2:3] offset:40
	global_load_dwordx4 v[22:25], v26, s[2:3]
	v_readfirstlane_b32 s11, v7
	v_readfirstlane_b32 s10, v6
	s_mov_b64 s[12:13], exec
	s_waitcnt vmcnt(1)
	v_readfirstlane_b32 s14, v27
	v_readfirstlane_b32 s15, v28
	s_and_b64 s[14:15], s[14:15], s[10:11]
	s_mul_i32 s16, s15, 24
	s_mul_hi_u32 s17, s14, 24
	s_mul_i32 s18, s14, 24
	s_add_i32 s16, s17, s16
	v_mov_b32_e32 v6, s16
	s_waitcnt vmcnt(0)
	v_add_co_u32_e32 v27, vcc, s18, v22
	v_addc_co_u32_e32 v28, vcc, v23, v6, vcc
	s_and_saveexec_b64 s[16:17], s[0:1]
	s_cbranch_execz .LBB6_224
; %bb.223:                              ;   in Loop: Header=BB6_160 Depth=1
	v_mov_b32_e32 v6, s12
	v_mov_b32_e32 v7, s13
	global_store_dwordx4 v[27:28], v[6:9], off offset:8
.LBB6_224:                              ;   in Loop: Header=BB6_160 Depth=1
	s_or_b64 exec, exec, s[16:17]
	s_lshl_b64 s[12:13], s[14:15], 12
	v_mov_b32_e32 v6, s13
	v_add_co_u32_e32 v24, vcc, s12, v24
	v_addc_co_u32_e32 v30, vcc, v25, v6, vcc
	v_cmp_lt_u64_e64 vcc, s[6:7], 57
	s_lshl_b32 s12, s8, 2
	v_cndmask_b32_e32 v6, 0, v29, vcc
	s_add_i32 s12, s12, 28
	v_and_b32_e32 v0, 0xffffff1f, v0
	s_and_b32 s12, s12, 0x1e0
	v_or_b32_e32 v0, v0, v6
	v_or_b32_e32 v0, s12, v0
	v_readfirstlane_b32 s12, v24
	v_readfirstlane_b32 s13, v30
	s_nop 4
	global_store_dwordx4 v31, v[0:3], s[12:13]
	global_store_dwordx4 v31, v[10:13], s[12:13] offset:16
	global_store_dwordx4 v31, v[14:17], s[12:13] offset:32
	;; [unrolled: 1-line block ×3, first 2 shown]
	s_and_saveexec_b64 s[12:13], s[0:1]
	s_cbranch_execz .LBB6_232
; %bb.225:                              ;   in Loop: Header=BB6_160 Depth=1
	global_load_dwordx2 v[12:13], v26, s[2:3] offset:32 glc
	global_load_dwordx2 v[0:1], v26, s[2:3] offset:40
	v_mov_b32_e32 v10, s10
	v_mov_b32_e32 v11, s11
	s_waitcnt vmcnt(0)
	v_readfirstlane_b32 s14, v0
	v_readfirstlane_b32 s15, v1
	s_and_b64 s[14:15], s[14:15], s[10:11]
	s_mul_i32 s15, s15, 24
	s_mul_hi_u32 s16, s14, 24
	s_mul_i32 s14, s14, 24
	s_add_i32 s15, s16, s15
	v_mov_b32_e32 v0, s15
	v_add_co_u32_e32 v6, vcc, s14, v22
	v_addc_co_u32_e32 v7, vcc, v23, v0, vcc
	global_store_dwordx2 v[6:7], v[12:13], off
	s_waitcnt vmcnt(0)
	global_atomic_cmpswap_x2 v[2:3], v26, v[10:13], s[2:3] offset:32 glc
	s_waitcnt vmcnt(0)
	v_cmp_ne_u64_e32 vcc, v[2:3], v[12:13]
	s_and_saveexec_b64 s[14:15], vcc
	s_cbranch_execz .LBB6_228
; %bb.226:                              ;   in Loop: Header=BB6_160 Depth=1
	s_mov_b64 s[16:17], 0
.LBB6_227:                              ;   Parent Loop BB6_160 Depth=1
                                        ; =>  This Inner Loop Header: Depth=2
	s_sleep 1
	global_store_dwordx2 v[6:7], v[2:3], off
	v_mov_b32_e32 v0, s10
	v_mov_b32_e32 v1, s11
	s_waitcnt vmcnt(0)
	global_atomic_cmpswap_x2 v[0:1], v26, v[0:3], s[2:3] offset:32 glc
	s_waitcnt vmcnt(0)
	v_cmp_eq_u64_e32 vcc, v[0:1], v[2:3]
	v_mov_b32_e32 v3, v1
	s_or_b64 s[16:17], vcc, s[16:17]
	v_mov_b32_e32 v2, v0
	s_andn2_b64 exec, exec, s[16:17]
	s_cbranch_execnz .LBB6_227
.LBB6_228:                              ;   in Loop: Header=BB6_160 Depth=1
	s_or_b64 exec, exec, s[14:15]
	global_load_dwordx2 v[0:1], v26, s[2:3] offset:16
	s_mov_b64 s[16:17], exec
	v_mbcnt_lo_u32_b32 v2, s16, 0
	v_mbcnt_hi_u32_b32 v2, s17, v2
	v_cmp_eq_u32_e32 vcc, 0, v2
	s_and_saveexec_b64 s[14:15], vcc
	s_cbranch_execz .LBB6_230
; %bb.229:                              ;   in Loop: Header=BB6_160 Depth=1
	s_bcnt1_i32_b64 s16, s[16:17]
	v_mov_b32_e32 v25, s16
	s_waitcnt vmcnt(0)
	global_atomic_add_x2 v[0:1], v[25:26], off offset:8
.LBB6_230:                              ;   in Loop: Header=BB6_160 Depth=1
	s_or_b64 exec, exec, s[14:15]
	s_waitcnt vmcnt(0)
	global_load_dwordx2 v[2:3], v[0:1], off offset:16
	s_waitcnt vmcnt(0)
	v_cmp_eq_u64_e32 vcc, 0, v[2:3]
	s_cbranch_vccnz .LBB6_232
; %bb.231:                              ;   in Loop: Header=BB6_160 Depth=1
	global_load_dword v25, v[0:1], off offset:24
	s_waitcnt vmcnt(0)
	v_readfirstlane_b32 s14, v25
	s_and_b32 m0, s14, 0xffffff
	global_store_dwordx2 v[2:3], v[25:26], off
	s_sendmsg sendmsg(MSG_INTERRUPT)
.LBB6_232:                              ;   in Loop: Header=BB6_160 Depth=1
	s_or_b64 exec, exec, s[12:13]
	v_add_co_u32_e32 v0, vcc, v24, v31
	v_addc_co_u32_e32 v1, vcc, 0, v30, vcc
	s_branch .LBB6_236
.LBB6_233:                              ;   in Loop: Header=BB6_236 Depth=2
	s_or_b64 exec, exec, s[12:13]
	v_readfirstlane_b32 s12, v2
	s_cmp_eq_u32 s12, 0
	s_cbranch_scc1 .LBB6_235
; %bb.234:                              ;   in Loop: Header=BB6_236 Depth=2
	s_sleep 1
	s_cbranch_execnz .LBB6_236
	s_branch .LBB6_238
.LBB6_235:                              ;   in Loop: Header=BB6_160 Depth=1
	s_branch .LBB6_238
.LBB6_236:                              ;   Parent Loop BB6_160 Depth=1
                                        ; =>  This Inner Loop Header: Depth=2
	v_mov_b32_e32 v2, 1
	s_and_saveexec_b64 s[12:13], s[0:1]
	s_cbranch_execz .LBB6_233
; %bb.237:                              ;   in Loop: Header=BB6_236 Depth=2
	global_load_dword v2, v[27:28], off offset:20 glc
	s_waitcnt vmcnt(0)
	buffer_wbinvl1_vol
	v_and_b32_e32 v2, 1, v2
	s_branch .LBB6_233
.LBB6_238:                              ;   in Loop: Header=BB6_160 Depth=1
	global_load_dwordx2 v[0:1], v[0:1], off
	s_and_saveexec_b64 s[12:13], s[0:1]
	s_cbranch_execz .LBB6_159
; %bb.239:                              ;   in Loop: Header=BB6_160 Depth=1
	global_load_dwordx2 v[2:3], v26, s[2:3] offset:40
	global_load_dwordx2 v[14:15], v26, s[2:3] offset:24 glc
	global_load_dwordx2 v[6:7], v26, s[2:3]
	s_waitcnt vmcnt(2)
	v_readfirstlane_b32 s14, v2
	v_readfirstlane_b32 s15, v3
	s_add_u32 s16, s14, 1
	s_addc_u32 s17, s15, 0
	s_add_u32 s0, s16, s10
	s_addc_u32 s1, s17, s11
	s_cmp_eq_u64 s[0:1], 0
	s_cselect_b32 s1, s17, s1
	s_cselect_b32 s0, s16, s0
	s_and_b64 s[10:11], s[0:1], s[14:15]
	s_mul_i32 s11, s11, 24
	s_mul_hi_u32 s14, s10, 24
	s_mul_i32 s10, s10, 24
	s_add_i32 s11, s14, s11
	v_mov_b32_e32 v3, s11
	s_waitcnt vmcnt(0)
	v_add_co_u32_e32 v2, vcc, s10, v6
	v_addc_co_u32_e32 v3, vcc, v7, v3, vcc
	v_mov_b32_e32 v12, s0
	global_store_dwordx2 v[2:3], v[14:15], off
	v_mov_b32_e32 v13, s1
	s_waitcnt vmcnt(0)
	global_atomic_cmpswap_x2 v[12:13], v26, v[12:15], s[2:3] offset:24 glc
	s_waitcnt vmcnt(0)
	v_cmp_ne_u64_e32 vcc, v[12:13], v[14:15]
	s_and_b64 exec, exec, vcc
	s_cbranch_execz .LBB6_159
; %bb.240:                              ;   in Loop: Header=BB6_160 Depth=1
	s_mov_b64 s[10:11], 0
.LBB6_241:                              ;   Parent Loop BB6_160 Depth=1
                                        ; =>  This Inner Loop Header: Depth=2
	s_sleep 1
	global_store_dwordx2 v[2:3], v[12:13], off
	v_mov_b32_e32 v10, s0
	v_mov_b32_e32 v11, s1
	s_waitcnt vmcnt(0)
	global_atomic_cmpswap_x2 v[6:7], v26, v[10:13], s[2:3] offset:24 glc
	s_waitcnt vmcnt(0)
	v_cmp_eq_u64_e32 vcc, v[6:7], v[12:13]
	v_mov_b32_e32 v13, v7
	s_or_b64 s[10:11], vcc, s[10:11]
	v_mov_b32_e32 v12, v6
	s_andn2_b64 exec, exec, s[10:11]
	s_cbranch_execnz .LBB6_241
	s_branch .LBB6_159
.LBB6_242:
	s_mov_b64 s[0:1], -1
                                        ; implicit-def: $vgpr0_vgpr1
	s_branch .LBB6_244
.LBB6_243:
	s_mov_b64 s[0:1], 0
.LBB6_244:
	s_and_b64 vcc, exec, s[0:1]
	s_cbranch_vccz .LBB6_271
; %bb.245:
	v_readfirstlane_b32 s0, v32
	v_mov_b32_e32 v7, 0
	v_mov_b32_e32 v8, 0
	v_cmp_eq_u32_e64 s[0:1], s0, v32
	s_and_saveexec_b64 s[4:5], s[0:1]
	s_cbranch_execz .LBB6_251
; %bb.246:
	s_waitcnt vmcnt(0)
	v_mov_b32_e32 v0, 0
	global_load_dwordx2 v[9:10], v0, s[2:3] offset:24 glc
	s_waitcnt vmcnt(0)
	buffer_wbinvl1_vol
	global_load_dwordx2 v[1:2], v0, s[2:3] offset:40
	global_load_dwordx2 v[6:7], v0, s[2:3]
	s_waitcnt vmcnt(1)
	v_and_b32_e32 v1, v1, v9
	v_and_b32_e32 v2, v2, v10
	v_mul_lo_u32 v2, v2, 24
	v_mul_hi_u32 v3, v1, 24
	v_mul_lo_u32 v1, v1, 24
	v_add_u32_e32 v2, v3, v2
	s_waitcnt vmcnt(0)
	v_add_co_u32_e32 v1, vcc, v6, v1
	v_addc_co_u32_e32 v2, vcc, v7, v2, vcc
	global_load_dwordx2 v[7:8], v[1:2], off glc
	s_waitcnt vmcnt(0)
	global_atomic_cmpswap_x2 v[7:8], v0, v[7:10], s[2:3] offset:24 glc
	s_waitcnt vmcnt(0)
	buffer_wbinvl1_vol
	v_cmp_ne_u64_e32 vcc, v[7:8], v[9:10]
	s_and_saveexec_b64 s[6:7], vcc
	s_cbranch_execz .LBB6_250
; %bb.247:
	s_mov_b64 s[8:9], 0
.LBB6_248:                              ; =>This Inner Loop Header: Depth=1
	s_sleep 1
	global_load_dwordx2 v[1:2], v0, s[2:3] offset:40
	global_load_dwordx2 v[11:12], v0, s[2:3]
	v_mov_b32_e32 v10, v8
	v_mov_b32_e32 v9, v7
	s_waitcnt vmcnt(1)
	v_and_b32_e32 v1, v1, v9
	s_waitcnt vmcnt(0)
	v_mad_u64_u32 v[6:7], s[10:11], v1, 24, v[11:12]
	v_and_b32_e32 v2, v2, v10
	v_mov_b32_e32 v1, v7
	v_mad_u64_u32 v[1:2], s[10:11], v2, 24, v[1:2]
	v_mov_b32_e32 v7, v1
	global_load_dwordx2 v[7:8], v[6:7], off glc
	s_waitcnt vmcnt(0)
	global_atomic_cmpswap_x2 v[7:8], v0, v[7:10], s[2:3] offset:24 glc
	s_waitcnt vmcnt(0)
	buffer_wbinvl1_vol
	v_cmp_eq_u64_e32 vcc, v[7:8], v[9:10]
	s_or_b64 s[8:9], vcc, s[8:9]
	s_andn2_b64 exec, exec, s[8:9]
	s_cbranch_execnz .LBB6_248
; %bb.249:
	s_or_b64 exec, exec, s[8:9]
.LBB6_250:
	s_or_b64 exec, exec, s[6:7]
.LBB6_251:
	s_or_b64 exec, exec, s[4:5]
	v_mov_b32_e32 v6, 0
	global_load_dwordx2 v[9:10], v6, s[2:3] offset:40
	global_load_dwordx4 v[0:3], v6, s[2:3]
	v_readfirstlane_b32 s5, v8
	v_readfirstlane_b32 s4, v7
	s_mov_b64 s[6:7], exec
	s_waitcnt vmcnt(1)
	v_readfirstlane_b32 s8, v9
	v_readfirstlane_b32 s9, v10
	s_and_b64 s[8:9], s[8:9], s[4:5]
	s_mul_i32 s10, s9, 24
	s_mul_hi_u32 s11, s8, 24
	s_mul_i32 s12, s8, 24
	s_add_i32 s10, s11, s10
	v_mov_b32_e32 v7, s10
	s_waitcnt vmcnt(0)
	v_add_co_u32_e32 v8, vcc, s12, v0
	v_addc_co_u32_e32 v9, vcc, v1, v7, vcc
	s_and_saveexec_b64 s[10:11], s[0:1]
	s_cbranch_execz .LBB6_253
; %bb.252:
	v_mov_b32_e32 v11, s7
	v_mov_b32_e32 v10, s6
	;; [unrolled: 1-line block ×4, first 2 shown]
	global_store_dwordx4 v[8:9], v[10:13], off offset:8
.LBB6_253:
	s_or_b64 exec, exec, s[10:11]
	s_lshl_b64 s[6:7], s[8:9], 12
	v_mov_b32_e32 v7, s7
	v_add_co_u32_e32 v2, vcc, s6, v2
	v_addc_co_u32_e32 v3, vcc, v3, v7, vcc
	s_movk_i32 s6, 0xff1f
	v_and_or_b32 v4, v4, s6, 32
	v_add_co_u32_e32 v10, vcc, v2, v31
	s_mov_b32 s8, 0
	v_mov_b32_e32 v7, v6
	v_readfirstlane_b32 s6, v2
	v_readfirstlane_b32 s7, v3
	v_addc_co_u32_e32 v11, vcc, 0, v3, vcc
	s_mov_b32 s9, s8
	s_mov_b32 s10, s8
	;; [unrolled: 1-line block ×3, first 2 shown]
	s_nop 0
	global_store_dwordx4 v31, v[4:7], s[6:7]
	v_mov_b32_e32 v2, s8
	v_mov_b32_e32 v3, s9
	v_mov_b32_e32 v4, s10
	v_mov_b32_e32 v5, s11
	global_store_dwordx4 v31, v[2:5], s[6:7] offset:16
	global_store_dwordx4 v31, v[2:5], s[6:7] offset:32
	;; [unrolled: 1-line block ×3, first 2 shown]
	s_and_saveexec_b64 s[6:7], s[0:1]
	s_cbranch_execz .LBB6_261
; %bb.254:
	v_mov_b32_e32 v6, 0
	global_load_dwordx2 v[14:15], v6, s[2:3] offset:32 glc
	global_load_dwordx2 v[2:3], v6, s[2:3] offset:40
	v_mov_b32_e32 v12, s4
	v_mov_b32_e32 v13, s5
	s_waitcnt vmcnt(0)
	v_readfirstlane_b32 s8, v2
	v_readfirstlane_b32 s9, v3
	s_and_b64 s[8:9], s[8:9], s[4:5]
	s_mul_i32 s9, s9, 24
	s_mul_hi_u32 s10, s8, 24
	s_mul_i32 s8, s8, 24
	s_add_i32 s9, s10, s9
	v_mov_b32_e32 v2, s9
	v_add_co_u32_e32 v4, vcc, s8, v0
	v_addc_co_u32_e32 v5, vcc, v1, v2, vcc
	global_store_dwordx2 v[4:5], v[14:15], off
	s_waitcnt vmcnt(0)
	global_atomic_cmpswap_x2 v[2:3], v6, v[12:15], s[2:3] offset:32 glc
	s_waitcnt vmcnt(0)
	v_cmp_ne_u64_e32 vcc, v[2:3], v[14:15]
	s_and_saveexec_b64 s[8:9], vcc
	s_cbranch_execz .LBB6_257
; %bb.255:
	s_mov_b64 s[10:11], 0
.LBB6_256:                              ; =>This Inner Loop Header: Depth=1
	s_sleep 1
	global_store_dwordx2 v[4:5], v[2:3], off
	v_mov_b32_e32 v0, s4
	v_mov_b32_e32 v1, s5
	s_waitcnt vmcnt(0)
	global_atomic_cmpswap_x2 v[0:1], v6, v[0:3], s[2:3] offset:32 glc
	s_waitcnt vmcnt(0)
	v_cmp_eq_u64_e32 vcc, v[0:1], v[2:3]
	v_mov_b32_e32 v3, v1
	s_or_b64 s[10:11], vcc, s[10:11]
	v_mov_b32_e32 v2, v0
	s_andn2_b64 exec, exec, s[10:11]
	s_cbranch_execnz .LBB6_256
.LBB6_257:
	s_or_b64 exec, exec, s[8:9]
	v_mov_b32_e32 v3, 0
	global_load_dwordx2 v[0:1], v3, s[2:3] offset:16
	s_mov_b64 s[8:9], exec
	v_mbcnt_lo_u32_b32 v2, s8, 0
	v_mbcnt_hi_u32_b32 v2, s9, v2
	v_cmp_eq_u32_e32 vcc, 0, v2
	s_and_saveexec_b64 s[10:11], vcc
	s_cbranch_execz .LBB6_259
; %bb.258:
	s_bcnt1_i32_b64 s8, s[8:9]
	v_mov_b32_e32 v2, s8
	s_waitcnt vmcnt(0)
	global_atomic_add_x2 v[0:1], v[2:3], off offset:8
.LBB6_259:
	s_or_b64 exec, exec, s[10:11]
	s_waitcnt vmcnt(0)
	global_load_dwordx2 v[2:3], v[0:1], off offset:16
	s_waitcnt vmcnt(0)
	v_cmp_eq_u64_e32 vcc, 0, v[2:3]
	s_cbranch_vccnz .LBB6_261
; %bb.260:
	global_load_dword v0, v[0:1], off offset:24
	v_mov_b32_e32 v1, 0
	s_waitcnt vmcnt(0)
	v_readfirstlane_b32 s8, v0
	s_and_b32 m0, s8, 0xffffff
	global_store_dwordx2 v[2:3], v[0:1], off
	s_sendmsg sendmsg(MSG_INTERRUPT)
.LBB6_261:
	s_or_b64 exec, exec, s[6:7]
	s_branch .LBB6_265
.LBB6_262:                              ;   in Loop: Header=BB6_265 Depth=1
	s_or_b64 exec, exec, s[6:7]
	v_readfirstlane_b32 s6, v0
	s_cmp_eq_u32 s6, 0
	s_cbranch_scc1 .LBB6_264
; %bb.263:                              ;   in Loop: Header=BB6_265 Depth=1
	s_sleep 1
	s_cbranch_execnz .LBB6_265
	s_branch .LBB6_267
.LBB6_264:
	s_branch .LBB6_267
.LBB6_265:                              ; =>This Inner Loop Header: Depth=1
	v_mov_b32_e32 v0, 1
	s_and_saveexec_b64 s[6:7], s[0:1]
	s_cbranch_execz .LBB6_262
; %bb.266:                              ;   in Loop: Header=BB6_265 Depth=1
	global_load_dword v0, v[8:9], off offset:20 glc
	s_waitcnt vmcnt(0)
	buffer_wbinvl1_vol
	v_and_b32_e32 v0, 1, v0
	s_branch .LBB6_262
.LBB6_267:
	global_load_dwordx2 v[0:1], v[10:11], off
	s_and_saveexec_b64 s[6:7], s[0:1]
	s_cbranch_execz .LBB6_270
; %bb.268:
	v_mov_b32_e32 v8, 0
	global_load_dwordx2 v[2:3], v8, s[2:3] offset:40
	global_load_dwordx2 v[11:12], v8, s[2:3] offset:24 glc
	global_load_dwordx2 v[4:5], v8, s[2:3]
	s_waitcnt vmcnt(2)
	v_readfirstlane_b32 s8, v2
	v_readfirstlane_b32 s9, v3
	s_add_u32 s10, s8, 1
	s_addc_u32 s11, s9, 0
	s_add_u32 s0, s10, s4
	s_addc_u32 s1, s11, s5
	s_cmp_eq_u64 s[0:1], 0
	s_cselect_b32 s1, s11, s1
	s_cselect_b32 s0, s10, s0
	s_and_b64 s[4:5], s[0:1], s[8:9]
	s_mul_i32 s5, s5, 24
	s_mul_hi_u32 s8, s4, 24
	s_mul_i32 s4, s4, 24
	s_add_i32 s5, s8, s5
	v_mov_b32_e32 v2, s5
	s_waitcnt vmcnt(0)
	v_add_co_u32_e32 v6, vcc, s4, v4
	v_addc_co_u32_e32 v7, vcc, v5, v2, vcc
	v_mov_b32_e32 v9, s0
	global_store_dwordx2 v[6:7], v[11:12], off
	v_mov_b32_e32 v10, s1
	s_waitcnt vmcnt(0)
	global_atomic_cmpswap_x2 v[4:5], v8, v[9:12], s[2:3] offset:24 glc
	s_mov_b64 s[4:5], 0
	s_waitcnt vmcnt(0)
	v_cmp_ne_u64_e32 vcc, v[4:5], v[11:12]
	s_and_b64 exec, exec, vcc
	s_cbranch_execz .LBB6_270
.LBB6_269:                              ; =>This Inner Loop Header: Depth=1
	s_sleep 1
	global_store_dwordx2 v[6:7], v[4:5], off
	v_mov_b32_e32 v2, s0
	v_mov_b32_e32 v3, s1
	s_waitcnt vmcnt(0)
	global_atomic_cmpswap_x2 v[2:3], v8, v[2:5], s[2:3] offset:24 glc
	s_waitcnt vmcnt(0)
	v_cmp_eq_u64_e32 vcc, v[2:3], v[4:5]
	v_mov_b32_e32 v5, v3
	s_or_b64 s[4:5], vcc, s[4:5]
	v_mov_b32_e32 v4, v2
	s_andn2_b64 exec, exec, s[4:5]
	s_cbranch_execnz .LBB6_269
.LBB6_270:
	s_or_b64 exec, exec, s[6:7]
.LBB6_271:
	s_getpc_b64 s[4:5]
	s_add_u32 s4, s4, __FUNCTION__._ZN9rocsparseL39csr2csr_compress_fill_warp_start_deviceILj256ELj32ELj2EfEEviPKT2_PjS1_@rel32@lo+4
	s_addc_u32 s5, s5, __FUNCTION__._ZN9rocsparseL39csr2csr_compress_fill_warp_start_deviceILj256ELj32ELj2EfEEviPKT2_PjS1_@rel32@hi+12
	s_cmp_lg_u64 s[4:5], 0
	s_cbranch_scc0 .LBB6_356
; %bb.272:
	s_waitcnt vmcnt(0)
	v_and_b32_e32 v29, 2, v0
	v_mov_b32_e32 v26, 0
	v_and_b32_e32 v2, -3, v0
	v_mov_b32_e32 v3, v1
	s_mov_b64 s[6:7], 40
	v_mov_b32_e32 v8, 2
	v_mov_b32_e32 v9, 1
	s_branch .LBB6_274
.LBB6_273:                              ;   in Loop: Header=BB6_274 Depth=1
	s_or_b64 exec, exec, s[12:13]
	s_sub_u32 s6, s6, s8
	s_subb_u32 s7, s7, s9
	s_add_u32 s4, s4, s8
	s_addc_u32 s5, s5, s9
	s_cmp_lg_u64 s[6:7], 0
	s_cbranch_scc0 .LBB6_357
.LBB6_274:                              ; =>This Loop Header: Depth=1
                                        ;     Child Loop BB6_277 Depth 2
                                        ;     Child Loop BB6_285 Depth 2
	;; [unrolled: 1-line block ×11, first 2 shown]
	v_cmp_lt_u64_e64 s[0:1], s[6:7], 56
	v_cmp_gt_u64_e64 s[10:11], s[6:7], 7
	s_and_b64 s[0:1], s[0:1], exec
	s_cselect_b32 s9, s7, 0
	s_cselect_b32 s8, s6, 56
	s_add_u32 s0, s4, 8
	s_addc_u32 s1, s5, 0
	s_and_b64 vcc, exec, s[10:11]
	s_cbranch_vccnz .LBB6_278
; %bb.275:                              ;   in Loop: Header=BB6_274 Depth=1
	s_cmp_eq_u64 s[6:7], 0
	s_cbranch_scc1 .LBB6_279
; %bb.276:                              ;   in Loop: Header=BB6_274 Depth=1
	v_mov_b32_e32 v4, 0
	s_lshl_b64 s[0:1], s[8:9], 3
	s_mov_b64 s[10:11], 0
	v_mov_b32_e32 v5, 0
	s_mov_b64 s[12:13], s[4:5]
.LBB6_277:                              ;   Parent Loop BB6_274 Depth=1
                                        ; =>  This Inner Loop Header: Depth=2
	global_load_ubyte v6, v26, s[12:13]
	s_waitcnt vmcnt(0)
	v_and_b32_e32 v25, 0xffff, v6
	v_lshlrev_b64 v[6:7], s10, v[25:26]
	s_add_u32 s10, s10, 8
	s_addc_u32 s11, s11, 0
	s_add_u32 s12, s12, 1
	s_addc_u32 s13, s13, 0
	v_or_b32_e32 v4, v6, v4
	s_cmp_lg_u32 s0, s10
	v_or_b32_e32 v5, v7, v5
	s_cbranch_scc1 .LBB6_277
	s_branch .LBB6_280
.LBB6_278:                              ;   in Loop: Header=BB6_274 Depth=1
	s_mov_b32 s14, 0
	s_branch .LBB6_281
.LBB6_279:                              ;   in Loop: Header=BB6_274 Depth=1
	v_mov_b32_e32 v4, 0
	v_mov_b32_e32 v5, 0
.LBB6_280:                              ;   in Loop: Header=BB6_274 Depth=1
	s_mov_b64 s[0:1], s[4:5]
	s_mov_b32 s14, 0
	s_cbranch_execnz .LBB6_282
.LBB6_281:                              ;   in Loop: Header=BB6_274 Depth=1
	global_load_dwordx2 v[4:5], v26, s[4:5]
	s_add_i32 s14, s8, -8
.LBB6_282:                              ;   in Loop: Header=BB6_274 Depth=1
	s_add_u32 s10, s0, 8
	s_addc_u32 s11, s1, 0
	s_cmp_gt_u32 s14, 7
	s_cbranch_scc1 .LBB6_286
; %bb.283:                              ;   in Loop: Header=BB6_274 Depth=1
	s_cmp_eq_u32 s14, 0
	s_cbranch_scc1 .LBB6_287
; %bb.284:                              ;   in Loop: Header=BB6_274 Depth=1
	v_mov_b32_e32 v10, 0
	s_mov_b64 s[10:11], 0
	v_mov_b32_e32 v11, 0
	s_mov_b64 s[12:13], 0
.LBB6_285:                              ;   Parent Loop BB6_274 Depth=1
                                        ; =>  This Inner Loop Header: Depth=2
	s_add_u32 s16, s0, s12
	s_addc_u32 s17, s1, s13
	global_load_ubyte v6, v26, s[16:17]
	s_add_u32 s12, s12, 1
	s_addc_u32 s13, s13, 0
	s_waitcnt vmcnt(0)
	v_and_b32_e32 v25, 0xffff, v6
	v_lshlrev_b64 v[6:7], s10, v[25:26]
	s_add_u32 s10, s10, 8
	s_addc_u32 s11, s11, 0
	v_or_b32_e32 v10, v6, v10
	s_cmp_lg_u32 s14, s12
	v_or_b32_e32 v11, v7, v11
	s_cbranch_scc1 .LBB6_285
	s_branch .LBB6_288
.LBB6_286:                              ;   in Loop: Header=BB6_274 Depth=1
                                        ; implicit-def: $vgpr10_vgpr11
	s_mov_b32 s15, 0
	s_branch .LBB6_289
.LBB6_287:                              ;   in Loop: Header=BB6_274 Depth=1
	v_mov_b32_e32 v10, 0
	v_mov_b32_e32 v11, 0
.LBB6_288:                              ;   in Loop: Header=BB6_274 Depth=1
	s_mov_b64 s[10:11], s[0:1]
	s_mov_b32 s15, 0
	s_cbranch_execnz .LBB6_290
.LBB6_289:                              ;   in Loop: Header=BB6_274 Depth=1
	global_load_dwordx2 v[10:11], v26, s[0:1]
	s_add_i32 s15, s14, -8
.LBB6_290:                              ;   in Loop: Header=BB6_274 Depth=1
	s_add_u32 s0, s10, 8
	s_addc_u32 s1, s11, 0
	s_cmp_gt_u32 s15, 7
	s_cbranch_scc1 .LBB6_294
; %bb.291:                              ;   in Loop: Header=BB6_274 Depth=1
	s_cmp_eq_u32 s15, 0
	s_cbranch_scc1 .LBB6_295
; %bb.292:                              ;   in Loop: Header=BB6_274 Depth=1
	v_mov_b32_e32 v12, 0
	s_mov_b64 s[0:1], 0
	v_mov_b32_e32 v13, 0
	s_mov_b64 s[12:13], 0
.LBB6_293:                              ;   Parent Loop BB6_274 Depth=1
                                        ; =>  This Inner Loop Header: Depth=2
	s_add_u32 s16, s10, s12
	s_addc_u32 s17, s11, s13
	global_load_ubyte v6, v26, s[16:17]
	s_add_u32 s12, s12, 1
	s_addc_u32 s13, s13, 0
	s_waitcnt vmcnt(0)
	v_and_b32_e32 v25, 0xffff, v6
	v_lshlrev_b64 v[6:7], s0, v[25:26]
	s_add_u32 s0, s0, 8
	s_addc_u32 s1, s1, 0
	v_or_b32_e32 v12, v6, v12
	s_cmp_lg_u32 s15, s12
	v_or_b32_e32 v13, v7, v13
	s_cbranch_scc1 .LBB6_293
	s_branch .LBB6_296
.LBB6_294:                              ;   in Loop: Header=BB6_274 Depth=1
	s_mov_b32 s14, 0
	s_branch .LBB6_297
.LBB6_295:                              ;   in Loop: Header=BB6_274 Depth=1
	v_mov_b32_e32 v12, 0
	v_mov_b32_e32 v13, 0
.LBB6_296:                              ;   in Loop: Header=BB6_274 Depth=1
	s_mov_b64 s[0:1], s[10:11]
	s_mov_b32 s14, 0
	s_cbranch_execnz .LBB6_298
.LBB6_297:                              ;   in Loop: Header=BB6_274 Depth=1
	global_load_dwordx2 v[12:13], v26, s[10:11]
	s_add_i32 s14, s15, -8
.LBB6_298:                              ;   in Loop: Header=BB6_274 Depth=1
	s_add_u32 s10, s0, 8
	s_addc_u32 s11, s1, 0
	s_cmp_gt_u32 s14, 7
	s_cbranch_scc1 .LBB6_302
; %bb.299:                              ;   in Loop: Header=BB6_274 Depth=1
	s_cmp_eq_u32 s14, 0
	s_cbranch_scc1 .LBB6_303
; %bb.300:                              ;   in Loop: Header=BB6_274 Depth=1
	v_mov_b32_e32 v14, 0
	s_mov_b64 s[10:11], 0
	v_mov_b32_e32 v15, 0
	s_mov_b64 s[12:13], 0
.LBB6_301:                              ;   Parent Loop BB6_274 Depth=1
                                        ; =>  This Inner Loop Header: Depth=2
	s_add_u32 s16, s0, s12
	s_addc_u32 s17, s1, s13
	global_load_ubyte v6, v26, s[16:17]
	s_add_u32 s12, s12, 1
	s_addc_u32 s13, s13, 0
	s_waitcnt vmcnt(0)
	v_and_b32_e32 v25, 0xffff, v6
	v_lshlrev_b64 v[6:7], s10, v[25:26]
	s_add_u32 s10, s10, 8
	s_addc_u32 s11, s11, 0
	v_or_b32_e32 v14, v6, v14
	s_cmp_lg_u32 s14, s12
	v_or_b32_e32 v15, v7, v15
	s_cbranch_scc1 .LBB6_301
	s_branch .LBB6_304
.LBB6_302:                              ;   in Loop: Header=BB6_274 Depth=1
                                        ; implicit-def: $vgpr14_vgpr15
	s_mov_b32 s15, 0
	s_branch .LBB6_305
.LBB6_303:                              ;   in Loop: Header=BB6_274 Depth=1
	v_mov_b32_e32 v14, 0
	v_mov_b32_e32 v15, 0
.LBB6_304:                              ;   in Loop: Header=BB6_274 Depth=1
	s_mov_b64 s[10:11], s[0:1]
	s_mov_b32 s15, 0
	s_cbranch_execnz .LBB6_306
.LBB6_305:                              ;   in Loop: Header=BB6_274 Depth=1
	global_load_dwordx2 v[14:15], v26, s[0:1]
	s_add_i32 s15, s14, -8
.LBB6_306:                              ;   in Loop: Header=BB6_274 Depth=1
	s_add_u32 s0, s10, 8
	s_addc_u32 s1, s11, 0
	s_cmp_gt_u32 s15, 7
	s_cbranch_scc1 .LBB6_310
; %bb.307:                              ;   in Loop: Header=BB6_274 Depth=1
	s_cmp_eq_u32 s15, 0
	s_cbranch_scc1 .LBB6_311
; %bb.308:                              ;   in Loop: Header=BB6_274 Depth=1
	v_mov_b32_e32 v16, 0
	s_mov_b64 s[0:1], 0
	v_mov_b32_e32 v17, 0
	s_mov_b64 s[12:13], 0
.LBB6_309:                              ;   Parent Loop BB6_274 Depth=1
                                        ; =>  This Inner Loop Header: Depth=2
	s_add_u32 s16, s10, s12
	s_addc_u32 s17, s11, s13
	global_load_ubyte v6, v26, s[16:17]
	s_add_u32 s12, s12, 1
	s_addc_u32 s13, s13, 0
	s_waitcnt vmcnt(0)
	v_and_b32_e32 v25, 0xffff, v6
	v_lshlrev_b64 v[6:7], s0, v[25:26]
	s_add_u32 s0, s0, 8
	s_addc_u32 s1, s1, 0
	v_or_b32_e32 v16, v6, v16
	s_cmp_lg_u32 s15, s12
	v_or_b32_e32 v17, v7, v17
	s_cbranch_scc1 .LBB6_309
	s_branch .LBB6_312
.LBB6_310:                              ;   in Loop: Header=BB6_274 Depth=1
	s_mov_b32 s14, 0
	s_branch .LBB6_313
.LBB6_311:                              ;   in Loop: Header=BB6_274 Depth=1
	v_mov_b32_e32 v16, 0
	v_mov_b32_e32 v17, 0
.LBB6_312:                              ;   in Loop: Header=BB6_274 Depth=1
	s_mov_b64 s[0:1], s[10:11]
	s_mov_b32 s14, 0
	s_cbranch_execnz .LBB6_314
.LBB6_313:                              ;   in Loop: Header=BB6_274 Depth=1
	global_load_dwordx2 v[16:17], v26, s[10:11]
	s_add_i32 s14, s15, -8
.LBB6_314:                              ;   in Loop: Header=BB6_274 Depth=1
	s_add_u32 s10, s0, 8
	s_addc_u32 s11, s1, 0
	s_cmp_gt_u32 s14, 7
	s_cbranch_scc1 .LBB6_318
; %bb.315:                              ;   in Loop: Header=BB6_274 Depth=1
	s_cmp_eq_u32 s14, 0
	s_cbranch_scc1 .LBB6_319
; %bb.316:                              ;   in Loop: Header=BB6_274 Depth=1
	v_mov_b32_e32 v18, 0
	s_mov_b64 s[10:11], 0
	v_mov_b32_e32 v19, 0
	s_mov_b64 s[12:13], 0
.LBB6_317:                              ;   Parent Loop BB6_274 Depth=1
                                        ; =>  This Inner Loop Header: Depth=2
	s_add_u32 s16, s0, s12
	s_addc_u32 s17, s1, s13
	global_load_ubyte v6, v26, s[16:17]
	s_add_u32 s12, s12, 1
	s_addc_u32 s13, s13, 0
	s_waitcnt vmcnt(0)
	v_and_b32_e32 v25, 0xffff, v6
	v_lshlrev_b64 v[6:7], s10, v[25:26]
	s_add_u32 s10, s10, 8
	s_addc_u32 s11, s11, 0
	v_or_b32_e32 v18, v6, v18
	s_cmp_lg_u32 s14, s12
	v_or_b32_e32 v19, v7, v19
	s_cbranch_scc1 .LBB6_317
	s_branch .LBB6_320
.LBB6_318:                              ;   in Loop: Header=BB6_274 Depth=1
                                        ; implicit-def: $vgpr18_vgpr19
	s_mov_b32 s15, 0
	s_branch .LBB6_321
.LBB6_319:                              ;   in Loop: Header=BB6_274 Depth=1
	v_mov_b32_e32 v18, 0
	v_mov_b32_e32 v19, 0
.LBB6_320:                              ;   in Loop: Header=BB6_274 Depth=1
	s_mov_b64 s[10:11], s[0:1]
	s_mov_b32 s15, 0
	s_cbranch_execnz .LBB6_322
.LBB6_321:                              ;   in Loop: Header=BB6_274 Depth=1
	global_load_dwordx2 v[18:19], v26, s[0:1]
	s_add_i32 s15, s14, -8
.LBB6_322:                              ;   in Loop: Header=BB6_274 Depth=1
	s_cmp_gt_u32 s15, 7
	s_cbranch_scc1 .LBB6_326
; %bb.323:                              ;   in Loop: Header=BB6_274 Depth=1
	s_cmp_eq_u32 s15, 0
	s_cbranch_scc1 .LBB6_327
; %bb.324:                              ;   in Loop: Header=BB6_274 Depth=1
	v_mov_b32_e32 v20, 0
	s_mov_b64 s[0:1], 0
	v_mov_b32_e32 v21, 0
	s_mov_b64 s[12:13], s[10:11]
.LBB6_325:                              ;   Parent Loop BB6_274 Depth=1
                                        ; =>  This Inner Loop Header: Depth=2
	global_load_ubyte v6, v26, s[12:13]
	s_add_i32 s15, s15, -1
	s_waitcnt vmcnt(0)
	v_and_b32_e32 v25, 0xffff, v6
	v_lshlrev_b64 v[6:7], s0, v[25:26]
	s_add_u32 s0, s0, 8
	s_addc_u32 s1, s1, 0
	s_add_u32 s12, s12, 1
	s_addc_u32 s13, s13, 0
	v_or_b32_e32 v20, v6, v20
	s_cmp_lg_u32 s15, 0
	v_or_b32_e32 v21, v7, v21
	s_cbranch_scc1 .LBB6_325
	s_branch .LBB6_328
.LBB6_326:                              ;   in Loop: Header=BB6_274 Depth=1
	s_branch .LBB6_329
.LBB6_327:                              ;   in Loop: Header=BB6_274 Depth=1
	v_mov_b32_e32 v20, 0
	v_mov_b32_e32 v21, 0
.LBB6_328:                              ;   in Loop: Header=BB6_274 Depth=1
	s_cbranch_execnz .LBB6_330
.LBB6_329:                              ;   in Loop: Header=BB6_274 Depth=1
	global_load_dwordx2 v[20:21], v26, s[10:11]
.LBB6_330:                              ;   in Loop: Header=BB6_274 Depth=1
	v_readfirstlane_b32 s0, v32
	v_mov_b32_e32 v6, 0
	v_mov_b32_e32 v7, 0
	v_cmp_eq_u32_e64 s[0:1], s0, v32
	s_and_saveexec_b64 s[10:11], s[0:1]
	s_cbranch_execz .LBB6_336
; %bb.331:                              ;   in Loop: Header=BB6_274 Depth=1
	global_load_dwordx2 v[24:25], v26, s[2:3] offset:24 glc
	s_waitcnt vmcnt(0)
	buffer_wbinvl1_vol
	global_load_dwordx2 v[6:7], v26, s[2:3] offset:40
	global_load_dwordx2 v[22:23], v26, s[2:3]
	s_waitcnt vmcnt(1)
	v_and_b32_e32 v6, v6, v24
	v_and_b32_e32 v7, v7, v25
	v_mul_lo_u32 v7, v7, 24
	v_mul_hi_u32 v27, v6, 24
	v_mul_lo_u32 v6, v6, 24
	v_add_u32_e32 v7, v27, v7
	s_waitcnt vmcnt(0)
	v_add_co_u32_e32 v6, vcc, v22, v6
	v_addc_co_u32_e32 v7, vcc, v23, v7, vcc
	global_load_dwordx2 v[22:23], v[6:7], off glc
	s_waitcnt vmcnt(0)
	global_atomic_cmpswap_x2 v[6:7], v26, v[22:25], s[2:3] offset:24 glc
	s_waitcnt vmcnt(0)
	buffer_wbinvl1_vol
	v_cmp_ne_u64_e32 vcc, v[6:7], v[24:25]
	s_and_saveexec_b64 s[12:13], vcc
	s_cbranch_execz .LBB6_335
; %bb.332:                              ;   in Loop: Header=BB6_274 Depth=1
	s_mov_b64 s[14:15], 0
.LBB6_333:                              ;   Parent Loop BB6_274 Depth=1
                                        ; =>  This Inner Loop Header: Depth=2
	s_sleep 1
	global_load_dwordx2 v[22:23], v26, s[2:3] offset:40
	global_load_dwordx2 v[27:28], v26, s[2:3]
	v_mov_b32_e32 v25, v7
	v_mov_b32_e32 v24, v6
	s_waitcnt vmcnt(1)
	v_and_b32_e32 v6, v22, v24
	s_waitcnt vmcnt(0)
	v_mad_u64_u32 v[6:7], s[16:17], v6, 24, v[27:28]
	v_and_b32_e32 v22, v23, v25
	v_mad_u64_u32 v[22:23], s[16:17], v22, 24, v[7:8]
	v_mov_b32_e32 v7, v22
	global_load_dwordx2 v[22:23], v[6:7], off glc
	s_waitcnt vmcnt(0)
	global_atomic_cmpswap_x2 v[6:7], v26, v[22:25], s[2:3] offset:24 glc
	s_waitcnt vmcnt(0)
	buffer_wbinvl1_vol
	v_cmp_eq_u64_e32 vcc, v[6:7], v[24:25]
	s_or_b64 s[14:15], vcc, s[14:15]
	s_andn2_b64 exec, exec, s[14:15]
	s_cbranch_execnz .LBB6_333
; %bb.334:                              ;   in Loop: Header=BB6_274 Depth=1
	s_or_b64 exec, exec, s[14:15]
.LBB6_335:                              ;   in Loop: Header=BB6_274 Depth=1
	s_or_b64 exec, exec, s[12:13]
.LBB6_336:                              ;   in Loop: Header=BB6_274 Depth=1
	s_or_b64 exec, exec, s[10:11]
	global_load_dwordx2 v[27:28], v26, s[2:3] offset:40
	global_load_dwordx4 v[22:25], v26, s[2:3]
	v_readfirstlane_b32 s11, v7
	v_readfirstlane_b32 s10, v6
	s_mov_b64 s[12:13], exec
	s_waitcnt vmcnt(1)
	v_readfirstlane_b32 s14, v27
	v_readfirstlane_b32 s15, v28
	s_and_b64 s[14:15], s[14:15], s[10:11]
	s_mul_i32 s16, s15, 24
	s_mul_hi_u32 s17, s14, 24
	s_mul_i32 s18, s14, 24
	s_add_i32 s16, s17, s16
	v_mov_b32_e32 v6, s16
	s_waitcnt vmcnt(0)
	v_add_co_u32_e32 v27, vcc, s18, v22
	v_addc_co_u32_e32 v28, vcc, v23, v6, vcc
	s_and_saveexec_b64 s[16:17], s[0:1]
	s_cbranch_execz .LBB6_338
; %bb.337:                              ;   in Loop: Header=BB6_274 Depth=1
	v_mov_b32_e32 v6, s12
	v_mov_b32_e32 v7, s13
	global_store_dwordx4 v[27:28], v[6:9], off offset:8
.LBB6_338:                              ;   in Loop: Header=BB6_274 Depth=1
	s_or_b64 exec, exec, s[16:17]
	s_lshl_b64 s[12:13], s[14:15], 12
	v_mov_b32_e32 v6, s13
	v_add_co_u32_e32 v24, vcc, s12, v24
	v_addc_co_u32_e32 v30, vcc, v25, v6, vcc
	v_cmp_lt_u64_e64 vcc, s[6:7], 57
	s_lshl_b32 s12, s8, 2
	v_cndmask_b32_e32 v6, 0, v29, vcc
	s_add_i32 s12, s12, 28
	v_and_b32_e32 v2, 0xffffff1f, v2
	s_and_b32 s12, s12, 0x1e0
	v_or_b32_e32 v2, v2, v6
	v_or_b32_e32 v2, s12, v2
	v_readfirstlane_b32 s12, v24
	v_readfirstlane_b32 s13, v30
	s_nop 4
	global_store_dwordx4 v31, v[2:5], s[12:13]
	global_store_dwordx4 v31, v[10:13], s[12:13] offset:16
	global_store_dwordx4 v31, v[14:17], s[12:13] offset:32
	;; [unrolled: 1-line block ×3, first 2 shown]
	s_and_saveexec_b64 s[12:13], s[0:1]
	s_cbranch_execz .LBB6_346
; %bb.339:                              ;   in Loop: Header=BB6_274 Depth=1
	global_load_dwordx2 v[12:13], v26, s[2:3] offset:32 glc
	global_load_dwordx2 v[2:3], v26, s[2:3] offset:40
	v_mov_b32_e32 v10, s10
	v_mov_b32_e32 v11, s11
	s_waitcnt vmcnt(0)
	v_readfirstlane_b32 s14, v2
	v_readfirstlane_b32 s15, v3
	s_and_b64 s[14:15], s[14:15], s[10:11]
	s_mul_i32 s15, s15, 24
	s_mul_hi_u32 s16, s14, 24
	s_mul_i32 s14, s14, 24
	s_add_i32 s15, s16, s15
	v_mov_b32_e32 v2, s15
	v_add_co_u32_e32 v6, vcc, s14, v22
	v_addc_co_u32_e32 v7, vcc, v23, v2, vcc
	global_store_dwordx2 v[6:7], v[12:13], off
	s_waitcnt vmcnt(0)
	global_atomic_cmpswap_x2 v[4:5], v26, v[10:13], s[2:3] offset:32 glc
	s_waitcnt vmcnt(0)
	v_cmp_ne_u64_e32 vcc, v[4:5], v[12:13]
	s_and_saveexec_b64 s[14:15], vcc
	s_cbranch_execz .LBB6_342
; %bb.340:                              ;   in Loop: Header=BB6_274 Depth=1
	s_mov_b64 s[16:17], 0
.LBB6_341:                              ;   Parent Loop BB6_274 Depth=1
                                        ; =>  This Inner Loop Header: Depth=2
	s_sleep 1
	global_store_dwordx2 v[6:7], v[4:5], off
	v_mov_b32_e32 v2, s10
	v_mov_b32_e32 v3, s11
	s_waitcnt vmcnt(0)
	global_atomic_cmpswap_x2 v[2:3], v26, v[2:5], s[2:3] offset:32 glc
	s_waitcnt vmcnt(0)
	v_cmp_eq_u64_e32 vcc, v[2:3], v[4:5]
	v_mov_b32_e32 v5, v3
	s_or_b64 s[16:17], vcc, s[16:17]
	v_mov_b32_e32 v4, v2
	s_andn2_b64 exec, exec, s[16:17]
	s_cbranch_execnz .LBB6_341
.LBB6_342:                              ;   in Loop: Header=BB6_274 Depth=1
	s_or_b64 exec, exec, s[14:15]
	global_load_dwordx2 v[2:3], v26, s[2:3] offset:16
	s_mov_b64 s[16:17], exec
	v_mbcnt_lo_u32_b32 v4, s16, 0
	v_mbcnt_hi_u32_b32 v4, s17, v4
	v_cmp_eq_u32_e32 vcc, 0, v4
	s_and_saveexec_b64 s[14:15], vcc
	s_cbranch_execz .LBB6_344
; %bb.343:                              ;   in Loop: Header=BB6_274 Depth=1
	s_bcnt1_i32_b64 s16, s[16:17]
	v_mov_b32_e32 v25, s16
	s_waitcnt vmcnt(0)
	global_atomic_add_x2 v[2:3], v[25:26], off offset:8
.LBB6_344:                              ;   in Loop: Header=BB6_274 Depth=1
	s_or_b64 exec, exec, s[14:15]
	s_waitcnt vmcnt(0)
	global_load_dwordx2 v[4:5], v[2:3], off offset:16
	s_waitcnt vmcnt(0)
	v_cmp_eq_u64_e32 vcc, 0, v[4:5]
	s_cbranch_vccnz .LBB6_346
; %bb.345:                              ;   in Loop: Header=BB6_274 Depth=1
	global_load_dword v25, v[2:3], off offset:24
	s_waitcnt vmcnt(0)
	v_readfirstlane_b32 s14, v25
	s_and_b32 m0, s14, 0xffffff
	global_store_dwordx2 v[4:5], v[25:26], off
	s_sendmsg sendmsg(MSG_INTERRUPT)
.LBB6_346:                              ;   in Loop: Header=BB6_274 Depth=1
	s_or_b64 exec, exec, s[12:13]
	v_add_co_u32_e32 v2, vcc, v24, v31
	v_addc_co_u32_e32 v3, vcc, 0, v30, vcc
	s_branch .LBB6_350
.LBB6_347:                              ;   in Loop: Header=BB6_350 Depth=2
	s_or_b64 exec, exec, s[12:13]
	v_readfirstlane_b32 s12, v4
	s_cmp_eq_u32 s12, 0
	s_cbranch_scc1 .LBB6_349
; %bb.348:                              ;   in Loop: Header=BB6_350 Depth=2
	s_sleep 1
	s_cbranch_execnz .LBB6_350
	s_branch .LBB6_352
.LBB6_349:                              ;   in Loop: Header=BB6_274 Depth=1
	s_branch .LBB6_352
.LBB6_350:                              ;   Parent Loop BB6_274 Depth=1
                                        ; =>  This Inner Loop Header: Depth=2
	v_mov_b32_e32 v4, 1
	s_and_saveexec_b64 s[12:13], s[0:1]
	s_cbranch_execz .LBB6_347
; %bb.351:                              ;   in Loop: Header=BB6_350 Depth=2
	global_load_dword v4, v[27:28], off offset:20 glc
	s_waitcnt vmcnt(0)
	buffer_wbinvl1_vol
	v_and_b32_e32 v4, 1, v4
	s_branch .LBB6_347
.LBB6_352:                              ;   in Loop: Header=BB6_274 Depth=1
	global_load_dwordx2 v[2:3], v[2:3], off
	s_and_saveexec_b64 s[12:13], s[0:1]
	s_cbranch_execz .LBB6_273
; %bb.353:                              ;   in Loop: Header=BB6_274 Depth=1
	global_load_dwordx2 v[4:5], v26, s[2:3] offset:40
	global_load_dwordx2 v[14:15], v26, s[2:3] offset:24 glc
	global_load_dwordx2 v[6:7], v26, s[2:3]
	s_waitcnt vmcnt(2)
	v_readfirstlane_b32 s14, v4
	v_readfirstlane_b32 s15, v5
	s_add_u32 s16, s14, 1
	s_addc_u32 s17, s15, 0
	s_add_u32 s0, s16, s10
	s_addc_u32 s1, s17, s11
	s_cmp_eq_u64 s[0:1], 0
	s_cselect_b32 s1, s17, s1
	s_cselect_b32 s0, s16, s0
	s_and_b64 s[10:11], s[0:1], s[14:15]
	s_mul_i32 s11, s11, 24
	s_mul_hi_u32 s14, s10, 24
	s_mul_i32 s10, s10, 24
	s_add_i32 s11, s14, s11
	v_mov_b32_e32 v4, s11
	s_waitcnt vmcnt(0)
	v_add_co_u32_e32 v10, vcc, s10, v6
	v_addc_co_u32_e32 v11, vcc, v7, v4, vcc
	v_mov_b32_e32 v12, s0
	global_store_dwordx2 v[10:11], v[14:15], off
	v_mov_b32_e32 v13, s1
	s_waitcnt vmcnt(0)
	global_atomic_cmpswap_x2 v[6:7], v26, v[12:15], s[2:3] offset:24 glc
	s_waitcnt vmcnt(0)
	v_cmp_ne_u64_e32 vcc, v[6:7], v[14:15]
	s_and_b64 exec, exec, vcc
	s_cbranch_execz .LBB6_273
; %bb.354:                              ;   in Loop: Header=BB6_274 Depth=1
	s_mov_b64 s[10:11], 0
.LBB6_355:                              ;   Parent Loop BB6_274 Depth=1
                                        ; =>  This Inner Loop Header: Depth=2
	s_sleep 1
	global_store_dwordx2 v[10:11], v[6:7], off
	v_mov_b32_e32 v4, s0
	v_mov_b32_e32 v5, s1
	s_waitcnt vmcnt(0)
	global_atomic_cmpswap_x2 v[4:5], v26, v[4:7], s[2:3] offset:24 glc
	s_waitcnt vmcnt(0)
	v_cmp_eq_u64_e32 vcc, v[4:5], v[6:7]
	v_mov_b32_e32 v7, v5
	s_or_b64 s[10:11], vcc, s[10:11]
	v_mov_b32_e32 v6, v4
	s_andn2_b64 exec, exec, s[10:11]
	s_cbranch_execnz .LBB6_355
	s_branch .LBB6_273
.LBB6_356:
	s_mov_b64 s[0:1], -1
                                        ; implicit-def: $vgpr2_vgpr3
	s_branch .LBB6_358
.LBB6_357:
	s_mov_b64 s[0:1], 0
.LBB6_358:
	s_and_b64 vcc, exec, s[0:1]
	s_cbranch_vccz .LBB6_385
; %bb.359:
	v_readfirstlane_b32 s0, v32
	v_mov_b32_e32 v8, 0
	v_mov_b32_e32 v9, 0
	v_cmp_eq_u32_e64 s[0:1], s0, v32
	s_and_saveexec_b64 s[4:5], s[0:1]
	s_cbranch_execz .LBB6_365
; %bb.360:
	s_waitcnt vmcnt(0)
	v_mov_b32_e32 v2, 0
	global_load_dwordx2 v[5:6], v2, s[2:3] offset:24 glc
	s_waitcnt vmcnt(0)
	buffer_wbinvl1_vol
	global_load_dwordx2 v[3:4], v2, s[2:3] offset:40
	global_load_dwordx2 v[7:8], v2, s[2:3]
	s_waitcnt vmcnt(1)
	v_and_b32_e32 v3, v3, v5
	v_and_b32_e32 v4, v4, v6
	v_mul_lo_u32 v4, v4, 24
	v_mul_hi_u32 v9, v3, 24
	v_mul_lo_u32 v3, v3, 24
	v_add_u32_e32 v4, v9, v4
	s_waitcnt vmcnt(0)
	v_add_co_u32_e32 v3, vcc, v7, v3
	v_addc_co_u32_e32 v4, vcc, v8, v4, vcc
	global_load_dwordx2 v[3:4], v[3:4], off glc
	s_waitcnt vmcnt(0)
	global_atomic_cmpswap_x2 v[8:9], v2, v[3:6], s[2:3] offset:24 glc
	s_waitcnt vmcnt(0)
	buffer_wbinvl1_vol
	v_cmp_ne_u64_e32 vcc, v[8:9], v[5:6]
	s_and_saveexec_b64 s[6:7], vcc
	s_cbranch_execz .LBB6_364
; %bb.361:
	s_mov_b64 s[8:9], 0
.LBB6_362:                              ; =>This Inner Loop Header: Depth=1
	s_sleep 1
	global_load_dwordx2 v[3:4], v2, s[2:3] offset:40
	global_load_dwordx2 v[10:11], v2, s[2:3]
	v_mov_b32_e32 v5, v8
	v_mov_b32_e32 v6, v9
	s_waitcnt vmcnt(1)
	v_and_b32_e32 v3, v3, v5
	s_waitcnt vmcnt(0)
	v_mad_u64_u32 v[7:8], s[10:11], v3, 24, v[10:11]
	v_and_b32_e32 v4, v4, v6
	v_mov_b32_e32 v3, v8
	v_mad_u64_u32 v[3:4], s[10:11], v4, 24, v[3:4]
	v_mov_b32_e32 v8, v3
	global_load_dwordx2 v[3:4], v[7:8], off glc
	s_waitcnt vmcnt(0)
	global_atomic_cmpswap_x2 v[8:9], v2, v[3:6], s[2:3] offset:24 glc
	s_waitcnt vmcnt(0)
	buffer_wbinvl1_vol
	v_cmp_eq_u64_e32 vcc, v[8:9], v[5:6]
	s_or_b64 s[8:9], vcc, s[8:9]
	s_andn2_b64 exec, exec, s[8:9]
	s_cbranch_execnz .LBB6_362
; %bb.363:
	s_or_b64 exec, exec, s[8:9]
.LBB6_364:
	s_or_b64 exec, exec, s[6:7]
.LBB6_365:
	s_or_b64 exec, exec, s[4:5]
	s_waitcnt vmcnt(0)
	v_mov_b32_e32 v2, 0
	global_load_dwordx2 v[10:11], v2, s[2:3] offset:40
	global_load_dwordx4 v[4:7], v2, s[2:3]
	v_readfirstlane_b32 s5, v9
	v_readfirstlane_b32 s4, v8
	s_mov_b64 s[6:7], exec
	s_waitcnt vmcnt(1)
	v_readfirstlane_b32 s8, v10
	v_readfirstlane_b32 s9, v11
	s_and_b64 s[8:9], s[8:9], s[4:5]
	s_mul_i32 s10, s9, 24
	s_mul_hi_u32 s11, s8, 24
	s_mul_i32 s12, s8, 24
	s_add_i32 s10, s11, s10
	v_mov_b32_e32 v3, s10
	s_waitcnt vmcnt(0)
	v_add_co_u32_e32 v8, vcc, s12, v4
	v_addc_co_u32_e32 v9, vcc, v5, v3, vcc
	s_and_saveexec_b64 s[10:11], s[0:1]
	s_cbranch_execz .LBB6_367
; %bb.366:
	v_mov_b32_e32 v11, s7
	v_mov_b32_e32 v10, s6
	;; [unrolled: 1-line block ×4, first 2 shown]
	global_store_dwordx4 v[8:9], v[10:13], off offset:8
.LBB6_367:
	s_or_b64 exec, exec, s[10:11]
	s_lshl_b64 s[6:7], s[8:9], 12
	v_mov_b32_e32 v3, s7
	v_add_co_u32_e32 v10, vcc, s6, v6
	v_addc_co_u32_e32 v11, vcc, v7, v3, vcc
	s_movk_i32 s6, 0xff1f
	v_and_or_b32 v0, v0, s6, 32
	s_mov_b32 s8, 0
	v_mov_b32_e32 v3, v2
	v_readfirstlane_b32 s6, v10
	v_readfirstlane_b32 s7, v11
	v_add_co_u32_e32 v6, vcc, v10, v31
	s_mov_b32 s9, s8
	s_mov_b32 s10, s8
	;; [unrolled: 1-line block ×3, first 2 shown]
	s_nop 0
	global_store_dwordx4 v31, v[0:3], s[6:7]
	v_addc_co_u32_e32 v7, vcc, 0, v11, vcc
	v_mov_b32_e32 v0, s8
	v_mov_b32_e32 v1, s9
	;; [unrolled: 1-line block ×4, first 2 shown]
	global_store_dwordx4 v31, v[0:3], s[6:7] offset:16
	global_store_dwordx4 v31, v[0:3], s[6:7] offset:32
	;; [unrolled: 1-line block ×3, first 2 shown]
	s_and_saveexec_b64 s[6:7], s[0:1]
	s_cbranch_execz .LBB6_375
; %bb.368:
	v_mov_b32_e32 v10, 0
	global_load_dwordx2 v[13:14], v10, s[2:3] offset:32 glc
	global_load_dwordx2 v[0:1], v10, s[2:3] offset:40
	v_mov_b32_e32 v11, s4
	v_mov_b32_e32 v12, s5
	s_waitcnt vmcnt(0)
	v_readfirstlane_b32 s8, v0
	v_readfirstlane_b32 s9, v1
	s_and_b64 s[8:9], s[8:9], s[4:5]
	s_mul_i32 s9, s9, 24
	s_mul_hi_u32 s10, s8, 24
	s_mul_i32 s8, s8, 24
	s_add_i32 s9, s10, s9
	v_mov_b32_e32 v0, s9
	v_add_co_u32_e32 v4, vcc, s8, v4
	v_addc_co_u32_e32 v5, vcc, v5, v0, vcc
	global_store_dwordx2 v[4:5], v[13:14], off
	s_waitcnt vmcnt(0)
	global_atomic_cmpswap_x2 v[2:3], v10, v[11:14], s[2:3] offset:32 glc
	s_waitcnt vmcnt(0)
	v_cmp_ne_u64_e32 vcc, v[2:3], v[13:14]
	s_and_saveexec_b64 s[8:9], vcc
	s_cbranch_execz .LBB6_371
; %bb.369:
	s_mov_b64 s[10:11], 0
.LBB6_370:                              ; =>This Inner Loop Header: Depth=1
	s_sleep 1
	global_store_dwordx2 v[4:5], v[2:3], off
	v_mov_b32_e32 v0, s4
	v_mov_b32_e32 v1, s5
	s_waitcnt vmcnt(0)
	global_atomic_cmpswap_x2 v[0:1], v10, v[0:3], s[2:3] offset:32 glc
	s_waitcnt vmcnt(0)
	v_cmp_eq_u64_e32 vcc, v[0:1], v[2:3]
	v_mov_b32_e32 v3, v1
	s_or_b64 s[10:11], vcc, s[10:11]
	v_mov_b32_e32 v2, v0
	s_andn2_b64 exec, exec, s[10:11]
	s_cbranch_execnz .LBB6_370
.LBB6_371:
	s_or_b64 exec, exec, s[8:9]
	v_mov_b32_e32 v3, 0
	global_load_dwordx2 v[0:1], v3, s[2:3] offset:16
	s_mov_b64 s[8:9], exec
	v_mbcnt_lo_u32_b32 v2, s8, 0
	v_mbcnt_hi_u32_b32 v2, s9, v2
	v_cmp_eq_u32_e32 vcc, 0, v2
	s_and_saveexec_b64 s[10:11], vcc
	s_cbranch_execz .LBB6_373
; %bb.372:
	s_bcnt1_i32_b64 s8, s[8:9]
	v_mov_b32_e32 v2, s8
	s_waitcnt vmcnt(0)
	global_atomic_add_x2 v[0:1], v[2:3], off offset:8
.LBB6_373:
	s_or_b64 exec, exec, s[10:11]
	s_waitcnt vmcnt(0)
	global_load_dwordx2 v[2:3], v[0:1], off offset:16
	s_waitcnt vmcnt(0)
	v_cmp_eq_u64_e32 vcc, 0, v[2:3]
	s_cbranch_vccnz .LBB6_375
; %bb.374:
	global_load_dword v0, v[0:1], off offset:24
	v_mov_b32_e32 v1, 0
	s_waitcnt vmcnt(0)
	v_readfirstlane_b32 s8, v0
	s_and_b32 m0, s8, 0xffffff
	global_store_dwordx2 v[2:3], v[0:1], off
	s_sendmsg sendmsg(MSG_INTERRUPT)
.LBB6_375:
	s_or_b64 exec, exec, s[6:7]
	s_branch .LBB6_379
.LBB6_376:                              ;   in Loop: Header=BB6_379 Depth=1
	s_or_b64 exec, exec, s[6:7]
	v_readfirstlane_b32 s6, v0
	s_cmp_eq_u32 s6, 0
	s_cbranch_scc1 .LBB6_378
; %bb.377:                              ;   in Loop: Header=BB6_379 Depth=1
	s_sleep 1
	s_cbranch_execnz .LBB6_379
	s_branch .LBB6_381
.LBB6_378:
	s_branch .LBB6_381
.LBB6_379:                              ; =>This Inner Loop Header: Depth=1
	v_mov_b32_e32 v0, 1
	s_and_saveexec_b64 s[6:7], s[0:1]
	s_cbranch_execz .LBB6_376
; %bb.380:                              ;   in Loop: Header=BB6_379 Depth=1
	global_load_dword v0, v[8:9], off offset:20 glc
	s_waitcnt vmcnt(0)
	buffer_wbinvl1_vol
	v_and_b32_e32 v0, 1, v0
	s_branch .LBB6_376
.LBB6_381:
	global_load_dwordx2 v[2:3], v[6:7], off
	s_and_saveexec_b64 s[6:7], s[0:1]
	s_cbranch_execz .LBB6_384
; %bb.382:
	v_mov_b32_e32 v8, 0
	global_load_dwordx2 v[0:1], v8, s[2:3] offset:40
	global_load_dwordx2 v[11:12], v8, s[2:3] offset:24 glc
	global_load_dwordx2 v[4:5], v8, s[2:3]
	s_waitcnt vmcnt(2)
	v_readfirstlane_b32 s8, v0
	v_readfirstlane_b32 s9, v1
	s_add_u32 s10, s8, 1
	s_addc_u32 s11, s9, 0
	s_add_u32 s0, s10, s4
	s_addc_u32 s1, s11, s5
	s_cmp_eq_u64 s[0:1], 0
	s_cselect_b32 s1, s11, s1
	s_cselect_b32 s0, s10, s0
	s_and_b64 s[4:5], s[0:1], s[8:9]
	s_mul_i32 s5, s5, 24
	s_mul_hi_u32 s8, s4, 24
	s_mul_i32 s4, s4, 24
	s_add_i32 s5, s8, s5
	v_mov_b32_e32 v1, s5
	s_waitcnt vmcnt(0)
	v_add_co_u32_e32 v0, vcc, s4, v4
	v_addc_co_u32_e32 v1, vcc, v5, v1, vcc
	v_mov_b32_e32 v9, s0
	global_store_dwordx2 v[0:1], v[11:12], off
	v_mov_b32_e32 v10, s1
	s_waitcnt vmcnt(0)
	global_atomic_cmpswap_x2 v[6:7], v8, v[9:12], s[2:3] offset:24 glc
	s_mov_b64 s[4:5], 0
	s_waitcnt vmcnt(0)
	v_cmp_ne_u64_e32 vcc, v[6:7], v[11:12]
	s_and_b64 exec, exec, vcc
	s_cbranch_execz .LBB6_384
.LBB6_383:                              ; =>This Inner Loop Header: Depth=1
	s_sleep 1
	global_store_dwordx2 v[0:1], v[6:7], off
	v_mov_b32_e32 v4, s0
	v_mov_b32_e32 v5, s1
	s_waitcnt vmcnt(0)
	global_atomic_cmpswap_x2 v[4:5], v8, v[4:7], s[2:3] offset:24 glc
	s_waitcnt vmcnt(0)
	v_cmp_eq_u64_e32 vcc, v[4:5], v[6:7]
	v_mov_b32_e32 v7, v5
	s_or_b64 s[4:5], vcc, s[4:5]
	v_mov_b32_e32 v6, v4
	s_andn2_b64 exec, exec, s[4:5]
	s_cbranch_execnz .LBB6_383
.LBB6_384:
	s_or_b64 exec, exec, s[6:7]
.LBB6_385:
	v_readfirstlane_b32 s0, v32
	s_waitcnt vmcnt(0)
	v_mov_b32_e32 v0, 0
	v_mov_b32_e32 v1, 0
	v_cmp_eq_u32_e64 s[0:1], s0, v32
	s_and_saveexec_b64 s[4:5], s[0:1]
	s_cbranch_execz .LBB6_391
; %bb.386:
	v_mov_b32_e32 v4, 0
	global_load_dwordx2 v[7:8], v4, s[2:3] offset:24 glc
	s_waitcnt vmcnt(0)
	buffer_wbinvl1_vol
	global_load_dwordx2 v[0:1], v4, s[2:3] offset:40
	global_load_dwordx2 v[5:6], v4, s[2:3]
	s_waitcnt vmcnt(1)
	v_and_b32_e32 v0, v0, v7
	v_and_b32_e32 v1, v1, v8
	v_mul_lo_u32 v1, v1, 24
	v_mul_hi_u32 v9, v0, 24
	v_mul_lo_u32 v0, v0, 24
	v_add_u32_e32 v1, v9, v1
	s_waitcnt vmcnt(0)
	v_add_co_u32_e32 v0, vcc, v5, v0
	v_addc_co_u32_e32 v1, vcc, v6, v1, vcc
	global_load_dwordx2 v[5:6], v[0:1], off glc
	s_waitcnt vmcnt(0)
	global_atomic_cmpswap_x2 v[0:1], v4, v[5:8], s[2:3] offset:24 glc
	s_waitcnt vmcnt(0)
	buffer_wbinvl1_vol
	v_cmp_ne_u64_e32 vcc, v[0:1], v[7:8]
	s_and_saveexec_b64 s[6:7], vcc
	s_cbranch_execz .LBB6_390
; %bb.387:
	s_mov_b64 s[8:9], 0
.LBB6_388:                              ; =>This Inner Loop Header: Depth=1
	s_sleep 1
	global_load_dwordx2 v[5:6], v4, s[2:3] offset:40
	global_load_dwordx2 v[9:10], v4, s[2:3]
	v_mov_b32_e32 v8, v1
	v_mov_b32_e32 v7, v0
	s_waitcnt vmcnt(1)
	v_and_b32_e32 v0, v5, v7
	s_waitcnt vmcnt(0)
	v_mad_u64_u32 v[0:1], s[10:11], v0, 24, v[9:10]
	v_and_b32_e32 v5, v6, v8
	v_mad_u64_u32 v[5:6], s[10:11], v5, 24, v[1:2]
	v_mov_b32_e32 v1, v5
	global_load_dwordx2 v[5:6], v[0:1], off glc
	s_waitcnt vmcnt(0)
	global_atomic_cmpswap_x2 v[0:1], v4, v[5:8], s[2:3] offset:24 glc
	s_waitcnt vmcnt(0)
	buffer_wbinvl1_vol
	v_cmp_eq_u64_e32 vcc, v[0:1], v[7:8]
	s_or_b64 s[8:9], vcc, s[8:9]
	s_andn2_b64 exec, exec, s[8:9]
	s_cbranch_execnz .LBB6_388
; %bb.389:
	s_or_b64 exec, exec, s[8:9]
.LBB6_390:
	s_or_b64 exec, exec, s[6:7]
.LBB6_391:
	s_or_b64 exec, exec, s[4:5]
	v_mov_b32_e32 v5, 0
	global_load_dwordx2 v[10:11], v5, s[2:3] offset:40
	global_load_dwordx4 v[6:9], v5, s[2:3]
	v_readfirstlane_b32 s5, v1
	v_readfirstlane_b32 s4, v0
	s_mov_b64 s[6:7], exec
	s_waitcnt vmcnt(1)
	v_readfirstlane_b32 s8, v10
	v_readfirstlane_b32 s9, v11
	s_and_b64 s[8:9], s[8:9], s[4:5]
	s_mul_i32 s10, s9, 24
	s_mul_hi_u32 s11, s8, 24
	s_mul_i32 s12, s8, 24
	s_add_i32 s10, s11, s10
	v_mov_b32_e32 v0, s10
	s_waitcnt vmcnt(0)
	v_add_co_u32_e32 v10, vcc, s12, v6
	v_addc_co_u32_e32 v11, vcc, v7, v0, vcc
	s_and_saveexec_b64 s[10:11], s[0:1]
	s_cbranch_execz .LBB6_393
; %bb.392:
	v_mov_b32_e32 v13, s7
	v_mov_b32_e32 v12, s6
	;; [unrolled: 1-line block ×4, first 2 shown]
	global_store_dwordx4 v[10:11], v[12:15], off offset:8
.LBB6_393:
	s_or_b64 exec, exec, s[10:11]
	s_lshl_b64 s[6:7], s[8:9], 12
	v_mov_b32_e32 v0, s7
	v_add_co_u32_e32 v1, vcc, s6, v8
	v_addc_co_u32_e32 v0, vcc, v9, v0, vcc
	s_movk_i32 s6, 0xff1d
	v_and_or_b32 v2, v2, s6, 34
	s_mov_b32 s8, 0
	v_mov_b32_e32 v4, 0x48
	v_readfirstlane_b32 s6, v1
	v_readfirstlane_b32 s7, v0
	s_mov_b32 s9, s8
	s_mov_b32 s10, s8
	;; [unrolled: 1-line block ×3, first 2 shown]
	s_nop 1
	global_store_dwordx4 v31, v[2:5], s[6:7]
	v_mov_b32_e32 v0, s8
	v_mov_b32_e32 v1, s9
	;; [unrolled: 1-line block ×4, first 2 shown]
	global_store_dwordx4 v31, v[0:3], s[6:7] offset:16
	global_store_dwordx4 v31, v[0:3], s[6:7] offset:32
	;; [unrolled: 1-line block ×3, first 2 shown]
	s_and_saveexec_b64 s[6:7], s[0:1]
	s_cbranch_execz .LBB6_401
; %bb.394:
	v_mov_b32_e32 v8, 0
	global_load_dwordx2 v[14:15], v8, s[2:3] offset:32 glc
	global_load_dwordx2 v[0:1], v8, s[2:3] offset:40
	v_mov_b32_e32 v12, s4
	v_mov_b32_e32 v13, s5
	s_waitcnt vmcnt(0)
	v_readfirstlane_b32 s8, v0
	v_readfirstlane_b32 s9, v1
	s_and_b64 s[8:9], s[8:9], s[4:5]
	s_mul_i32 s9, s9, 24
	s_mul_hi_u32 s10, s8, 24
	s_mul_i32 s8, s8, 24
	s_add_i32 s9, s10, s9
	v_mov_b32_e32 v0, s9
	v_add_co_u32_e32 v4, vcc, s8, v6
	v_addc_co_u32_e32 v5, vcc, v7, v0, vcc
	global_store_dwordx2 v[4:5], v[14:15], off
	s_waitcnt vmcnt(0)
	global_atomic_cmpswap_x2 v[2:3], v8, v[12:15], s[2:3] offset:32 glc
	s_waitcnt vmcnt(0)
	v_cmp_ne_u64_e32 vcc, v[2:3], v[14:15]
	s_and_saveexec_b64 s[8:9], vcc
	s_cbranch_execz .LBB6_397
; %bb.395:
	s_mov_b64 s[10:11], 0
.LBB6_396:                              ; =>This Inner Loop Header: Depth=1
	s_sleep 1
	global_store_dwordx2 v[4:5], v[2:3], off
	v_mov_b32_e32 v0, s4
	v_mov_b32_e32 v1, s5
	s_waitcnt vmcnt(0)
	global_atomic_cmpswap_x2 v[0:1], v8, v[0:3], s[2:3] offset:32 glc
	s_waitcnt vmcnt(0)
	v_cmp_eq_u64_e32 vcc, v[0:1], v[2:3]
	v_mov_b32_e32 v3, v1
	s_or_b64 s[10:11], vcc, s[10:11]
	v_mov_b32_e32 v2, v0
	s_andn2_b64 exec, exec, s[10:11]
	s_cbranch_execnz .LBB6_396
.LBB6_397:
	s_or_b64 exec, exec, s[8:9]
	v_mov_b32_e32 v3, 0
	global_load_dwordx2 v[0:1], v3, s[2:3] offset:16
	s_mov_b64 s[8:9], exec
	v_mbcnt_lo_u32_b32 v2, s8, 0
	v_mbcnt_hi_u32_b32 v2, s9, v2
	v_cmp_eq_u32_e32 vcc, 0, v2
	s_and_saveexec_b64 s[10:11], vcc
	s_cbranch_execz .LBB6_399
; %bb.398:
	s_bcnt1_i32_b64 s8, s[8:9]
	v_mov_b32_e32 v2, s8
	s_waitcnt vmcnt(0)
	global_atomic_add_x2 v[0:1], v[2:3], off offset:8
.LBB6_399:
	s_or_b64 exec, exec, s[10:11]
	s_waitcnt vmcnt(0)
	global_load_dwordx2 v[2:3], v[0:1], off offset:16
	s_waitcnt vmcnt(0)
	v_cmp_eq_u64_e32 vcc, 0, v[2:3]
	s_cbranch_vccnz .LBB6_401
; %bb.400:
	global_load_dword v0, v[0:1], off offset:24
	v_mov_b32_e32 v1, 0
	s_waitcnt vmcnt(0)
	v_readfirstlane_b32 s8, v0
	s_and_b32 m0, s8, 0xffffff
	global_store_dwordx2 v[2:3], v[0:1], off
	s_sendmsg sendmsg(MSG_INTERRUPT)
.LBB6_401:
	s_or_b64 exec, exec, s[6:7]
	s_branch .LBB6_405
.LBB6_402:                              ;   in Loop: Header=BB6_405 Depth=1
	s_or_b64 exec, exec, s[6:7]
	v_readfirstlane_b32 s6, v0
	s_cmp_eq_u32 s6, 0
	s_cbranch_scc1 .LBB6_404
; %bb.403:                              ;   in Loop: Header=BB6_405 Depth=1
	s_sleep 1
	s_cbranch_execnz .LBB6_405
	s_branch .LBB6_407
.LBB6_404:
	s_branch .LBB6_407
.LBB6_405:                              ; =>This Inner Loop Header: Depth=1
	v_mov_b32_e32 v0, 1
	s_and_saveexec_b64 s[6:7], s[0:1]
	s_cbranch_execz .LBB6_402
; %bb.406:                              ;   in Loop: Header=BB6_405 Depth=1
	global_load_dword v0, v[10:11], off offset:20 glc
	s_waitcnt vmcnt(0)
	buffer_wbinvl1_vol
	v_and_b32_e32 v0, 1, v0
	s_branch .LBB6_402
.LBB6_407:
	s_and_saveexec_b64 s[6:7], s[0:1]
	s_cbranch_execz .LBB6_410
; %bb.408:
	v_mov_b32_e32 v6, 0
	global_load_dwordx2 v[0:1], v6, s[2:3] offset:40
	global_load_dwordx2 v[9:10], v6, s[2:3] offset:24 glc
	global_load_dwordx2 v[2:3], v6, s[2:3]
	s_waitcnt vmcnt(2)
	v_readfirstlane_b32 s8, v0
	v_readfirstlane_b32 s9, v1
	s_add_u32 s10, s8, 1
	s_addc_u32 s11, s9, 0
	s_add_u32 s0, s10, s4
	s_addc_u32 s1, s11, s5
	s_cmp_eq_u64 s[0:1], 0
	s_cselect_b32 s1, s11, s1
	s_cselect_b32 s0, s10, s0
	s_and_b64 s[4:5], s[0:1], s[8:9]
	s_mul_i32 s5, s5, 24
	s_mul_hi_u32 s8, s4, 24
	s_mul_i32 s4, s4, 24
	s_add_i32 s5, s8, s5
	v_mov_b32_e32 v0, s5
	s_waitcnt vmcnt(0)
	v_add_co_u32_e32 v4, vcc, s4, v2
	v_addc_co_u32_e32 v5, vcc, v3, v0, vcc
	v_mov_b32_e32 v7, s0
	global_store_dwordx2 v[4:5], v[9:10], off
	v_mov_b32_e32 v8, s1
	s_waitcnt vmcnt(0)
	global_atomic_cmpswap_x2 v[2:3], v6, v[7:10], s[2:3] offset:24 glc
	s_mov_b64 s[4:5], 0
	s_waitcnt vmcnt(0)
	v_cmp_ne_u64_e32 vcc, v[2:3], v[9:10]
	s_and_b64 exec, exec, vcc
	s_cbranch_execz .LBB6_410
.LBB6_409:                              ; =>This Inner Loop Header: Depth=1
	s_sleep 1
	global_store_dwordx2 v[4:5], v[2:3], off
	v_mov_b32_e32 v0, s0
	v_mov_b32_e32 v1, s1
	s_waitcnt vmcnt(0)
	global_atomic_cmpswap_x2 v[0:1], v6, v[0:3], s[2:3] offset:24 glc
	s_waitcnt vmcnt(0)
	v_cmp_eq_u64_e32 vcc, v[0:1], v[2:3]
	v_mov_b32_e32 v3, v1
	s_or_b64 s[4:5], vcc, s[4:5]
	v_mov_b32_e32 v2, v0
	s_andn2_b64 exec, exec, s[4:5]
	s_cbranch_execnz .LBB6_409
.LBB6_410:
	s_or_b64 exec, exec, s[6:7]
	s_trap 2
	; divergent unreachable
	s_endpgm
	.section	.rodata,"a",@progbits
	.p2align	6, 0x0
	.amdhsa_kernel _ZN9rocsparseL39csr2csr_compress_fill_warp_start_deviceILj256ELj64ELj2EdEEviPKT2_PjS1_
		.amdhsa_group_segment_fixed_size 0
		.amdhsa_private_segment_fixed_size 0
		.amdhsa_kernarg_size 288
		.amdhsa_user_sgpr_count 6
		.amdhsa_user_sgpr_private_segment_buffer 1
		.amdhsa_user_sgpr_dispatch_ptr 0
		.amdhsa_user_sgpr_queue_ptr 0
		.amdhsa_user_sgpr_kernarg_segment_ptr 1
		.amdhsa_user_sgpr_dispatch_id 0
		.amdhsa_user_sgpr_flat_scratch_init 0
		.amdhsa_user_sgpr_private_segment_size 0
		.amdhsa_uses_dynamic_stack 0
		.amdhsa_system_sgpr_private_segment_wavefront_offset 0
		.amdhsa_system_sgpr_workgroup_id_x 1
		.amdhsa_system_sgpr_workgroup_id_y 0
		.amdhsa_system_sgpr_workgroup_id_z 0
		.amdhsa_system_sgpr_workgroup_info 0
		.amdhsa_system_vgpr_workitem_id 0
		.amdhsa_next_free_vgpr 34
		.amdhsa_next_free_sgpr 20
		.amdhsa_reserve_vcc 1
		.amdhsa_reserve_flat_scratch 0
		.amdhsa_float_round_mode_32 0
		.amdhsa_float_round_mode_16_64 0
		.amdhsa_float_denorm_mode_32 3
		.amdhsa_float_denorm_mode_16_64 3
		.amdhsa_dx10_clamp 1
		.amdhsa_ieee_mode 1
		.amdhsa_fp16_overflow 0
		.amdhsa_exception_fp_ieee_invalid_op 0
		.amdhsa_exception_fp_denorm_src 0
		.amdhsa_exception_fp_ieee_div_zero 0
		.amdhsa_exception_fp_ieee_overflow 0
		.amdhsa_exception_fp_ieee_underflow 0
		.amdhsa_exception_fp_ieee_inexact 0
		.amdhsa_exception_int_div_zero 0
	.end_amdhsa_kernel
	.section	.text._ZN9rocsparseL39csr2csr_compress_fill_warp_start_deviceILj256ELj64ELj2EdEEviPKT2_PjS1_,"axG",@progbits,_ZN9rocsparseL39csr2csr_compress_fill_warp_start_deviceILj256ELj64ELj2EdEEviPKT2_PjS1_,comdat
.Lfunc_end6:
	.size	_ZN9rocsparseL39csr2csr_compress_fill_warp_start_deviceILj256ELj64ELj2EdEEviPKT2_PjS1_, .Lfunc_end6-_ZN9rocsparseL39csr2csr_compress_fill_warp_start_deviceILj256ELj64ELj2EdEEviPKT2_PjS1_
                                        ; -- End function
	.set _ZN9rocsparseL39csr2csr_compress_fill_warp_start_deviceILj256ELj64ELj2EdEEviPKT2_PjS1_.num_vgpr, 34
	.set _ZN9rocsparseL39csr2csr_compress_fill_warp_start_deviceILj256ELj64ELj2EdEEviPKT2_PjS1_.num_agpr, 0
	.set _ZN9rocsparseL39csr2csr_compress_fill_warp_start_deviceILj256ELj64ELj2EdEEviPKT2_PjS1_.numbered_sgpr, 20
	.set _ZN9rocsparseL39csr2csr_compress_fill_warp_start_deviceILj256ELj64ELj2EdEEviPKT2_PjS1_.num_named_barrier, 0
	.set _ZN9rocsparseL39csr2csr_compress_fill_warp_start_deviceILj256ELj64ELj2EdEEviPKT2_PjS1_.private_seg_size, 0
	.set _ZN9rocsparseL39csr2csr_compress_fill_warp_start_deviceILj256ELj64ELj2EdEEviPKT2_PjS1_.uses_vcc, 1
	.set _ZN9rocsparseL39csr2csr_compress_fill_warp_start_deviceILj256ELj64ELj2EdEEviPKT2_PjS1_.uses_flat_scratch, 0
	.set _ZN9rocsparseL39csr2csr_compress_fill_warp_start_deviceILj256ELj64ELj2EdEEviPKT2_PjS1_.has_dyn_sized_stack, 0
	.set _ZN9rocsparseL39csr2csr_compress_fill_warp_start_deviceILj256ELj64ELj2EdEEviPKT2_PjS1_.has_recursion, 0
	.set _ZN9rocsparseL39csr2csr_compress_fill_warp_start_deviceILj256ELj64ELj2EdEEviPKT2_PjS1_.has_indirect_call, 0
	.section	.AMDGPU.csdata,"",@progbits
; Kernel info:
; codeLenInByte = 13384
; TotalNumSgprs: 24
; NumVgprs: 34
; ScratchSize: 0
; MemoryBound: 0
; FloatMode: 240
; IeeeMode: 1
; LDSByteSize: 0 bytes/workgroup (compile time only)
; SGPRBlocks: 2
; VGPRBlocks: 8
; NumSGPRsForWavesPerEU: 24
; NumVGPRsForWavesPerEU: 34
; Occupancy: 7
; WaveLimiterHint : 1
; COMPUTE_PGM_RSRC2:SCRATCH_EN: 0
; COMPUTE_PGM_RSRC2:USER_SGPR: 6
; COMPUTE_PGM_RSRC2:TRAP_HANDLER: 0
; COMPUTE_PGM_RSRC2:TGID_X_EN: 1
; COMPUTE_PGM_RSRC2:TGID_Y_EN: 0
; COMPUTE_PGM_RSRC2:TGID_Z_EN: 0
; COMPUTE_PGM_RSRC2:TIDIG_COMP_CNT: 0
	.section	.text._ZN9rocsparseL38csr2csr_compress_use_warp_start_deviceILj256ELj32ELj2EdEEvi21rocsparse_index_base_PKT2_PKiS1_PS2_PiPKjS2_,"axG",@progbits,_ZN9rocsparseL38csr2csr_compress_use_warp_start_deviceILj256ELj32ELj2EdEEvi21rocsparse_index_base_PKT2_PKiS1_PS2_PiPKjS2_,comdat
	.globl	_ZN9rocsparseL38csr2csr_compress_use_warp_start_deviceILj256ELj32ELj2EdEEvi21rocsparse_index_base_PKT2_PKiS1_PS2_PiPKjS2_ ; -- Begin function _ZN9rocsparseL38csr2csr_compress_use_warp_start_deviceILj256ELj32ELj2EdEEvi21rocsparse_index_base_PKT2_PKiS1_PS2_PiPKjS2_
	.p2align	8
	.type	_ZN9rocsparseL38csr2csr_compress_use_warp_start_deviceILj256ELj32ELj2EdEEvi21rocsparse_index_base_PKT2_PKiS1_PS2_PiPKjS2_,@function
_ZN9rocsparseL38csr2csr_compress_use_warp_start_deviceILj256ELj32ELj2EdEEvi21rocsparse_index_base_PKT2_PKiS1_PS2_PiPKjS2_: ; @_ZN9rocsparseL38csr2csr_compress_use_warp_start_deviceILj256ELj32ELj2EdEEvi21rocsparse_index_base_PKT2_PKiS1_PS2_PiPKjS2_
; %bb.0:
	s_load_dwordx4 s[16:19], s[4:5], 0x0
	s_load_dwordx2 s[20:21], s[4:5], 0x10
	s_load_dword s0, s[4:5], 0x18
	s_load_dwordx8 s[8:15], s[4:5], 0x20
	v_lshl_or_b32 v1, s6, 9, v0
	v_lshrrev_b32_e32 v2, 5, v0
	v_not_b32_e32 v0, v0
	v_lshrrev_b32_e64 v0, v0, -1
	v_lshl_or_b32 v3, s6, 4, v2
	s_waitcnt lgkmcnt(0)
	s_sub_i32 s28, s0, s17
	v_cmp_le_i32_e32 vcc, s16, v1
	v_cmp_gt_i32_e64 s[0:1], s16, v1
	s_mov_b64 s[2:3], 0
	s_and_saveexec_b64 s[6:7], s[0:1]
	s_cbranch_execnz .LBB7_4
; %bb.1:
	s_or_b64 exec, exec, s[6:7]
	s_and_saveexec_b64 s[6:7], vcc
	s_cbranch_execnz .LBB7_9
.LBB7_2:
	s_or_b64 exec, exec, s[6:7]
	s_and_saveexec_b64 s[0:1], s[2:3]
	s_xor_b64 s[0:1], exec, s[0:1]
	s_cbranch_execnz .LBB7_16
.LBB7_3:
	s_endpgm
.LBB7_4:
	v_ashrrev_i32_e32 v2, 31, v1
	v_lshlrev_b64 v[4:5], 3, v[1:2]
	v_mov_b32_e32 v6, s19
	v_add_co_u32_e64 v4, s[0:1], s18, v4
	v_addc_co_u32_e64 v5, s[0:1], v6, v5, s[0:1]
	global_load_dwordx2 v[5:6], v[4:5], off glc slc
	s_mov_b32 s2, 0
	s_mov_b32 s3, 0x38100000
	s_mov_b64 s[24:25], 0
	s_mov_b64 s[22:23], -1
	s_waitcnt vmcnt(0)
	v_cmp_gt_f64_e64 s[0:1], 0, v[5:6]
	v_xor_b32_e32 v4, 0x80000000, v6
	v_mov_b32_e32 v7, v5
	v_cndmask_b32_e64 v8, v6, v4, s[0:1]
	v_cmp_lt_f64_e64 s[0:1], s[14:15], v[7:8]
	v_cmp_lt_f64_e64 s[2:3], s[2:3], v[7:8]
	s_and_b64 s[26:27], s[0:1], s[2:3]
	v_cndmask_b32_e64 v4, 0, 1, s[26:27]
	v_cmp_ne_u32_e64 s[0:1], 0, v4
	s_and_saveexec_b64 s[2:3], s[26:27]
	s_cbranch_execz .LBB7_8
; %bb.5:
	v_mov_b32_e32 v8, 0
	v_and_b32_e32 v7, s0, v0
	v_cmp_ne_u64_e64 s[0:1], 0, v[7:8]
	s_mov_b64 s[22:23], 0
	s_mov_b64 s[26:27], -1
	s_and_saveexec_b64 s[24:25], s[0:1]
	s_cbranch_execz .LBB7_7
; %bb.6:
	v_mov_b32_e32 v4, v8
	v_lshlrev_b64 v[9:10], 2, v[3:4]
	v_mov_b32_e32 v4, s13
	v_add_co_u32_e64 v9, s[0:1], s12, v9
	v_lshlrev_b64 v[11:12], 2, v[1:2]
	v_addc_co_u32_e64 v10, s[0:1], v4, v10, s[0:1]
	v_mov_b32_e32 v2, s21
	v_add_co_u32_e64 v11, s[0:1], s20, v11
	v_addc_co_u32_e64 v12, s[0:1], v2, v12, s[0:1]
	global_load_dword v2, v[11:12], off
	global_load_dword v4, v[9:10], off
	v_bcnt_u32_b32 v7, v7, 0
	v_mov_b32_e32 v11, s9
	s_mov_b64 s[22:23], exec
	v_mov_b32_e32 v12, s11
	s_xor_b64 s[26:27], exec, -1
	s_waitcnt vmcnt(1)
	v_add_u32_e32 v2, s28, v2
	s_waitcnt vmcnt(0)
	v_add3_u32 v7, v7, v4, -1
	v_lshlrev_b64 v[9:10], 3, v[7:8]
	v_lshlrev_b64 v[7:8], 2, v[7:8]
	v_add_co_u32_e64 v9, s[0:1], s8, v9
	v_addc_co_u32_e64 v10, s[0:1], v11, v10, s[0:1]
	v_add_co_u32_e64 v7, s[0:1], s10, v7
	v_addc_co_u32_e64 v8, s[0:1], v12, v8, s[0:1]
	global_store_dwordx2 v[9:10], v[5:6], off
	global_store_dword v[7:8], v2, off
.LBB7_7:
	s_or_b64 exec, exec, s[24:25]
	s_and_b64 s[24:25], s[26:27], exec
	s_orn2_b64 s[22:23], s[22:23], exec
.LBB7_8:
	s_or_b64 exec, exec, s[2:3]
	s_andn2_b64 s[0:1], vcc, exec
	s_and_b64 s[22:23], s[22:23], exec
	s_and_b64 s[2:3], s[24:25], exec
	s_or_b64 vcc, s[0:1], s[22:23]
	s_or_b64 exec, exec, s[6:7]
	s_and_saveexec_b64 s[6:7], vcc
	s_cbranch_execz .LBB7_2
.LBB7_9:
	v_add_u32_e32 v2, 0x100, v1
	v_cmp_gt_i32_e32 vcc, s16, v2
	s_mov_b64 s[0:1], s[2:3]
	s_and_saveexec_b64 s[16:17], vcc
	s_cbranch_execz .LBB7_15
; %bb.10:
	v_ashrrev_i32_e32 v2, 31, v1
	v_lshlrev_b64 v[4:5], 3, v[1:2]
	v_mov_b32_e32 v6, s19
	v_add_co_u32_e32 v4, vcc, s18, v4
	v_addc_co_u32_e32 v5, vcc, v6, v5, vcc
	global_load_dwordx2 v[4:5], v[4:5], off offset:2048 glc slc
	s_mov_b32 s0, 0
	s_mov_b32 s1, 0x38100000
	s_waitcnt vmcnt(0)
	v_cmp_gt_f64_e32 vcc, 0, v[4:5]
	v_xor_b32_e32 v7, 0x80000000, v5
	v_mov_b32_e32 v6, v4
	v_cndmask_b32_e32 v7, v5, v7, vcc
	v_cmp_lt_f64_e32 vcc, s[14:15], v[6:7]
	v_cmp_lt_f64_e64 s[0:1], s[0:1], v[6:7]
	s_mov_b64 s[14:15], s[2:3]
	s_and_b64 s[18:19], vcc, s[0:1]
	v_cndmask_b32_e64 v6, 0, 1, s[18:19]
	v_cmp_ne_u32_e32 vcc, 0, v6
	s_and_saveexec_b64 s[0:1], s[18:19]
	s_cbranch_execz .LBB7_14
; %bb.11:
	v_mov_b32_e32 v7, 0
	v_and_b32_e32 v6, vcc_lo, v0
	v_cmp_ne_u64_e32 vcc, 0, v[6:7]
	s_mov_b64 s[18:19], -1
	s_and_saveexec_b64 s[14:15], vcc
	s_xor_b64 s[14:15], exec, s[14:15]
	s_cbranch_execz .LBB7_13
; %bb.12:
	v_bcnt_u32_b32 v10, v6, 0
	v_add_u32_e32 v6, 8, v3
	v_lshlrev_b64 v[8:9], 2, v[6:7]
	v_mov_b32_e32 v0, s13
	v_add_co_u32_e32 v8, vcc, s12, v8
	v_addc_co_u32_e32 v9, vcc, v0, v9, vcc
	v_lshlrev_b64 v[0:1], 2, v[1:2]
	v_mov_b32_e32 v2, s21
	v_add_co_u32_e32 v0, vcc, s20, v0
	v_addc_co_u32_e32 v1, vcc, v2, v1, vcc
	global_load_dword v2, v[0:1], off offset:1024
	global_load_dword v3, v[8:9], off
	v_mov_b32_e32 v8, s9
	v_mov_b32_e32 v9, s11
	s_xor_b64 s[18:19], exec, -1
	s_waitcnt vmcnt(1)
	v_add_u32_e32 v11, s28, v2
	s_waitcnt vmcnt(0)
	v_add3_u32 v6, v10, v3, -1
	v_lshlrev_b64 v[0:1], 3, v[6:7]
	v_lshlrev_b64 v[2:3], 2, v[6:7]
	v_add_co_u32_e32 v0, vcc, s8, v0
	v_addc_co_u32_e32 v1, vcc, v8, v1, vcc
	v_add_co_u32_e32 v2, vcc, s10, v2
	v_addc_co_u32_e32 v3, vcc, v9, v3, vcc
	global_store_dwordx2 v[0:1], v[4:5], off
	global_store_dword v[2:3], v11, off
.LBB7_13:
	s_or_b64 exec, exec, s[14:15]
	s_andn2_b64 s[8:9], s[2:3], exec
	s_and_b64 s[10:11], s[18:19], exec
	s_or_b64 s[14:15], s[8:9], s[10:11]
.LBB7_14:
	s_or_b64 exec, exec, s[0:1]
	s_andn2_b64 s[0:1], s[2:3], exec
	s_and_b64 s[8:9], s[14:15], exec
	s_or_b64 s[0:1], s[0:1], s[8:9]
.LBB7_15:
	s_or_b64 exec, exec, s[16:17]
	s_andn2_b64 s[2:3], s[2:3], exec
	s_and_b64 s[0:1], s[0:1], exec
	s_or_b64 s[2:3], s[2:3], s[0:1]
	s_or_b64 exec, exec, s[6:7]
	s_and_saveexec_b64 s[0:1], s[2:3]
	s_xor_b64 s[0:1], exec, s[0:1]
	s_cbranch_execz .LBB7_3
.LBB7_16:
	s_load_dwordx2 s[2:3], s[4:5], 0x90
	v_mbcnt_lo_u32_b32 v0, -1, 0
	v_mbcnt_hi_u32_b32 v32, -1, v0
	v_readfirstlane_b32 s0, v32
	v_mov_b32_e32 v5, 0
	v_mov_b32_e32 v6, 0
	v_cmp_eq_u32_e64 s[0:1], s0, v32
	s_and_saveexec_b64 s[4:5], s[0:1]
	s_cbranch_execz .LBB7_22
; %bb.17:
	v_mov_b32_e32 v0, 0
	s_waitcnt lgkmcnt(0)
	global_load_dwordx2 v[3:4], v0, s[2:3] offset:24 glc
	s_waitcnt vmcnt(0)
	buffer_wbinvl1_vol
	global_load_dwordx2 v[1:2], v0, s[2:3] offset:40
	global_load_dwordx2 v[5:6], v0, s[2:3]
	s_waitcnt vmcnt(1)
	v_and_b32_e32 v1, v1, v3
	v_and_b32_e32 v2, v2, v4
	v_mul_lo_u32 v2, v2, 24
	v_mul_hi_u32 v7, v1, 24
	v_mul_lo_u32 v1, v1, 24
	v_add_u32_e32 v2, v7, v2
	s_waitcnt vmcnt(0)
	v_add_co_u32_e32 v1, vcc, v5, v1
	v_addc_co_u32_e32 v2, vcc, v6, v2, vcc
	global_load_dwordx2 v[1:2], v[1:2], off glc
	s_waitcnt vmcnt(0)
	global_atomic_cmpswap_x2 v[5:6], v0, v[1:4], s[2:3] offset:24 glc
	s_waitcnt vmcnt(0)
	buffer_wbinvl1_vol
	v_cmp_ne_u64_e32 vcc, v[5:6], v[3:4]
	s_and_saveexec_b64 s[6:7], vcc
	s_cbranch_execz .LBB7_21
; %bb.18:
	s_mov_b64 s[8:9], 0
.LBB7_19:                               ; =>This Inner Loop Header: Depth=1
	s_sleep 1
	global_load_dwordx2 v[1:2], v0, s[2:3] offset:40
	global_load_dwordx2 v[7:8], v0, s[2:3]
	v_mov_b32_e32 v3, v5
	v_mov_b32_e32 v4, v6
	s_waitcnt vmcnt(1)
	v_and_b32_e32 v1, v1, v3
	s_waitcnt vmcnt(0)
	v_mad_u64_u32 v[5:6], s[10:11], v1, 24, v[7:8]
	v_and_b32_e32 v2, v2, v4
	v_mov_b32_e32 v1, v6
	v_mad_u64_u32 v[1:2], s[10:11], v2, 24, v[1:2]
	v_mov_b32_e32 v6, v1
	global_load_dwordx2 v[1:2], v[5:6], off glc
	s_waitcnt vmcnt(0)
	global_atomic_cmpswap_x2 v[5:6], v0, v[1:4], s[2:3] offset:24 glc
	s_waitcnt vmcnt(0)
	buffer_wbinvl1_vol
	v_cmp_eq_u64_e32 vcc, v[5:6], v[3:4]
	s_or_b64 s[8:9], vcc, s[8:9]
	s_andn2_b64 exec, exec, s[8:9]
	s_cbranch_execnz .LBB7_19
; %bb.20:
	s_or_b64 exec, exec, s[8:9]
.LBB7_21:
	s_or_b64 exec, exec, s[6:7]
.LBB7_22:
	s_or_b64 exec, exec, s[4:5]
	v_mov_b32_e32 v4, 0
	s_waitcnt lgkmcnt(0)
	global_load_dwordx2 v[7:8], v4, s[2:3] offset:40
	global_load_dwordx4 v[0:3], v4, s[2:3]
	v_readfirstlane_b32 s5, v6
	v_readfirstlane_b32 s4, v5
	s_mov_b64 s[6:7], exec
	s_waitcnt vmcnt(1)
	v_readfirstlane_b32 s8, v7
	v_readfirstlane_b32 s9, v8
	s_and_b64 s[8:9], s[8:9], s[4:5]
	s_mul_i32 s10, s9, 24
	s_mul_hi_u32 s11, s8, 24
	s_mul_i32 s12, s8, 24
	s_add_i32 s10, s11, s10
	v_mov_b32_e32 v5, s10
	s_waitcnt vmcnt(0)
	v_add_co_u32_e32 v7, vcc, s12, v0
	v_addc_co_u32_e32 v8, vcc, v1, v5, vcc
	s_and_saveexec_b64 s[10:11], s[0:1]
	s_cbranch_execz .LBB7_24
; %bb.23:
	v_mov_b32_e32 v10, s7
	v_mov_b32_e32 v9, s6
	;; [unrolled: 1-line block ×4, first 2 shown]
	global_store_dwordx4 v[7:8], v[9:12], off offset:8
.LBB7_24:
	s_or_b64 exec, exec, s[10:11]
	s_lshl_b64 s[6:7], s[8:9], 12
	v_mov_b32_e32 v5, s7
	v_add_co_u32_e32 v2, vcc, s6, v2
	v_addc_co_u32_e32 v11, vcc, v3, v5, vcc
	v_lshlrev_b32_e32 v31, 6, v32
	s_mov_b32 s8, 0
	v_mov_b32_e32 v3, 33
	v_mov_b32_e32 v5, v4
	;; [unrolled: 1-line block ×3, first 2 shown]
	v_readfirstlane_b32 s6, v2
	v_readfirstlane_b32 s7, v11
	v_add_co_u32_e32 v9, vcc, v2, v31
	s_mov_b32 s9, s8
	s_mov_b32 s10, s8
	;; [unrolled: 1-line block ×3, first 2 shown]
	s_nop 0
	global_store_dwordx4 v31, v[3:6], s[6:7]
	v_mov_b32_e32 v2, s8
	v_addc_co_u32_e32 v10, vcc, 0, v11, vcc
	v_mov_b32_e32 v3, s9
	v_mov_b32_e32 v4, s10
	;; [unrolled: 1-line block ×3, first 2 shown]
	global_store_dwordx4 v31, v[2:5], s[6:7] offset:16
	global_store_dwordx4 v31, v[2:5], s[6:7] offset:32
	;; [unrolled: 1-line block ×3, first 2 shown]
	s_and_saveexec_b64 s[6:7], s[0:1]
	s_cbranch_execz .LBB7_32
; %bb.25:
	v_mov_b32_e32 v6, 0
	global_load_dwordx2 v[13:14], v6, s[2:3] offset:32 glc
	global_load_dwordx2 v[2:3], v6, s[2:3] offset:40
	v_mov_b32_e32 v11, s4
	v_mov_b32_e32 v12, s5
	s_waitcnt vmcnt(0)
	v_and_b32_e32 v2, s4, v2
	v_and_b32_e32 v3, s5, v3
	v_mul_lo_u32 v3, v3, 24
	v_mul_hi_u32 v4, v2, 24
	v_mul_lo_u32 v2, v2, 24
	v_add_u32_e32 v3, v4, v3
	v_add_co_u32_e32 v4, vcc, v0, v2
	v_addc_co_u32_e32 v5, vcc, v1, v3, vcc
	global_store_dwordx2 v[4:5], v[13:14], off
	s_waitcnt vmcnt(0)
	global_atomic_cmpswap_x2 v[2:3], v6, v[11:14], s[2:3] offset:32 glc
	s_waitcnt vmcnt(0)
	v_cmp_ne_u64_e32 vcc, v[2:3], v[13:14]
	s_and_saveexec_b64 s[8:9], vcc
	s_cbranch_execz .LBB7_28
; %bb.26:
	s_mov_b64 s[10:11], 0
.LBB7_27:                               ; =>This Inner Loop Header: Depth=1
	s_sleep 1
	global_store_dwordx2 v[4:5], v[2:3], off
	v_mov_b32_e32 v0, s4
	v_mov_b32_e32 v1, s5
	s_waitcnt vmcnt(0)
	global_atomic_cmpswap_x2 v[0:1], v6, v[0:3], s[2:3] offset:32 glc
	s_waitcnt vmcnt(0)
	v_cmp_eq_u64_e32 vcc, v[0:1], v[2:3]
	v_mov_b32_e32 v3, v1
	s_or_b64 s[10:11], vcc, s[10:11]
	v_mov_b32_e32 v2, v0
	s_andn2_b64 exec, exec, s[10:11]
	s_cbranch_execnz .LBB7_27
.LBB7_28:
	s_or_b64 exec, exec, s[8:9]
	v_mov_b32_e32 v3, 0
	global_load_dwordx2 v[0:1], v3, s[2:3] offset:16
	s_mov_b64 s[8:9], exec
	v_mbcnt_lo_u32_b32 v2, s8, 0
	v_mbcnt_hi_u32_b32 v2, s9, v2
	v_cmp_eq_u32_e32 vcc, 0, v2
	s_and_saveexec_b64 s[10:11], vcc
	s_cbranch_execz .LBB7_30
; %bb.29:
	s_bcnt1_i32_b64 s8, s[8:9]
	v_mov_b32_e32 v2, s8
	s_waitcnt vmcnt(0)
	global_atomic_add_x2 v[0:1], v[2:3], off offset:8
.LBB7_30:
	s_or_b64 exec, exec, s[10:11]
	s_waitcnt vmcnt(0)
	global_load_dwordx2 v[2:3], v[0:1], off offset:16
	s_waitcnt vmcnt(0)
	v_cmp_eq_u64_e32 vcc, 0, v[2:3]
	s_cbranch_vccnz .LBB7_32
; %bb.31:
	global_load_dword v0, v[0:1], off offset:24
	v_mov_b32_e32 v1, 0
	s_waitcnt vmcnt(0)
	v_readfirstlane_b32 s8, v0
	s_and_b32 m0, s8, 0xffffff
	global_store_dwordx2 v[2:3], v[0:1], off
	s_sendmsg sendmsg(MSG_INTERRUPT)
.LBB7_32:
	s_or_b64 exec, exec, s[6:7]
	s_branch .LBB7_36
.LBB7_33:                               ;   in Loop: Header=BB7_36 Depth=1
	s_or_b64 exec, exec, s[6:7]
	v_readfirstlane_b32 s6, v0
	s_cmp_eq_u32 s6, 0
	s_cbranch_scc1 .LBB7_35
; %bb.34:                               ;   in Loop: Header=BB7_36 Depth=1
	s_sleep 1
	s_cbranch_execnz .LBB7_36
	s_branch .LBB7_38
.LBB7_35:
	s_branch .LBB7_38
.LBB7_36:                               ; =>This Inner Loop Header: Depth=1
	v_mov_b32_e32 v0, 1
	s_and_saveexec_b64 s[6:7], s[0:1]
	s_cbranch_execz .LBB7_33
; %bb.37:                               ;   in Loop: Header=BB7_36 Depth=1
	global_load_dword v0, v[7:8], off offset:20 glc
	s_waitcnt vmcnt(0)
	buffer_wbinvl1_vol
	v_and_b32_e32 v0, 1, v0
	s_branch .LBB7_33
.LBB7_38:
	global_load_dwordx2 v[0:1], v[9:10], off
	s_and_saveexec_b64 s[6:7], s[0:1]
	s_cbranch_execz .LBB7_41
; %bb.39:
	v_mov_b32_e32 v8, 0
	global_load_dwordx2 v[2:3], v8, s[2:3] offset:40
	global_load_dwordx2 v[11:12], v8, s[2:3] offset:24 glc
	global_load_dwordx2 v[4:5], v8, s[2:3]
	s_waitcnt vmcnt(2)
	v_readfirstlane_b32 s8, v2
	v_readfirstlane_b32 s9, v3
	s_add_u32 s10, s8, 1
	s_addc_u32 s11, s9, 0
	s_add_u32 s0, s10, s4
	s_addc_u32 s1, s11, s5
	s_cmp_eq_u64 s[0:1], 0
	s_cselect_b32 s1, s11, s1
	s_cselect_b32 s0, s10, s0
	s_and_b64 s[4:5], s[0:1], s[8:9]
	s_mul_i32 s5, s5, 24
	s_mul_hi_u32 s8, s4, 24
	s_mul_i32 s4, s4, 24
	s_add_i32 s5, s8, s5
	v_mov_b32_e32 v2, s5
	s_waitcnt vmcnt(0)
	v_add_co_u32_e32 v6, vcc, s4, v4
	v_addc_co_u32_e32 v7, vcc, v5, v2, vcc
	v_mov_b32_e32 v9, s0
	global_store_dwordx2 v[6:7], v[11:12], off
	v_mov_b32_e32 v10, s1
	s_waitcnt vmcnt(0)
	global_atomic_cmpswap_x2 v[4:5], v8, v[9:12], s[2:3] offset:24 glc
	s_mov_b64 s[4:5], 0
	s_waitcnt vmcnt(0)
	v_cmp_ne_u64_e32 vcc, v[4:5], v[11:12]
	s_and_b64 exec, exec, vcc
	s_cbranch_execz .LBB7_41
.LBB7_40:                               ; =>This Inner Loop Header: Depth=1
	s_sleep 1
	global_store_dwordx2 v[6:7], v[4:5], off
	v_mov_b32_e32 v2, s0
	v_mov_b32_e32 v3, s1
	s_waitcnt vmcnt(0)
	global_atomic_cmpswap_x2 v[2:3], v8, v[2:5], s[2:3] offset:24 glc
	s_waitcnt vmcnt(0)
	v_cmp_eq_u64_e32 vcc, v[2:3], v[4:5]
	v_mov_b32_e32 v5, v3
	s_or_b64 s[4:5], vcc, s[4:5]
	v_mov_b32_e32 v4, v2
	s_andn2_b64 exec, exec, s[4:5]
	s_cbranch_execnz .LBB7_40
.LBB7_41:
	s_or_b64 exec, exec, s[6:7]
	s_getpc_b64 s[4:5]
	s_add_u32 s4, s4, .str.2@rel32@lo+4
	s_addc_u32 s5, s5, .str.2@rel32@hi+12
	s_cmp_lg_u64 s[4:5], 0
	s_cselect_b64 s[0:1], -1, 0
	s_cmp_eq_u64 s[4:5], 0
	s_mov_b64 s[4:5], 0
	s_cbranch_scc1 .LBB7_45
; %bb.42:
	v_mov_b32_e32 v2, 0
	s_getpc_b64 s[4:5]
	s_add_u32 s4, s4, .str.2@rel32@lo+3
	s_addc_u32 s5, s5, .str.2@rel32@hi+11
.LBB7_43:                               ; =>This Inner Loop Header: Depth=1
	global_load_ubyte v3, v2, s[4:5] offset:1
	s_add_u32 s6, s4, 1
	s_addc_u32 s7, s5, 0
	s_mov_b64 s[4:5], s[6:7]
	s_waitcnt vmcnt(0)
	v_cmp_ne_u32_e32 vcc, 0, v3
	s_cbranch_vccnz .LBB7_43
; %bb.44:
	s_getpc_b64 s[4:5]
	s_add_u32 s4, s4, .str.2@rel32@lo+4
	s_addc_u32 s5, s5, .str.2@rel32@hi+12
	s_sub_u32 s4, s6, s4
	s_subb_u32 s5, s7, s5
	s_add_u32 s4, s4, 1
	s_addc_u32 s5, s5, 0
.LBB7_45:
	s_and_b64 vcc, exec, s[0:1]
	s_cbranch_vccz .LBB7_130
; %bb.46:
	s_waitcnt vmcnt(0)
	v_and_b32_e32 v33, 2, v0
	v_mov_b32_e32 v28, 0
	v_and_b32_e32 v4, -3, v0
	v_mov_b32_e32 v5, v1
	v_mov_b32_e32 v10, 2
	;; [unrolled: 1-line block ×3, first 2 shown]
	s_getpc_b64 s[6:7]
	s_add_u32 s6, s6, .str.2@rel32@lo+4
	s_addc_u32 s7, s7, .str.2@rel32@hi+12
	s_branch .LBB7_48
.LBB7_47:                               ;   in Loop: Header=BB7_48 Depth=1
	s_or_b64 exec, exec, s[12:13]
	s_sub_u32 s4, s4, s8
	s_subb_u32 s5, s5, s9
	s_add_u32 s6, s6, s8
	s_addc_u32 s7, s7, s9
	s_cmp_lg_u64 s[4:5], 0
	s_cbranch_scc0 .LBB7_131
.LBB7_48:                               ; =>This Loop Header: Depth=1
                                        ;     Child Loop BB7_51 Depth 2
                                        ;     Child Loop BB7_59 Depth 2
	;; [unrolled: 1-line block ×11, first 2 shown]
	v_cmp_lt_u64_e64 s[0:1], s[4:5], 56
	v_cmp_gt_u64_e64 s[10:11], s[4:5], 7
	s_and_b64 s[0:1], s[0:1], exec
	s_cselect_b32 s9, s5, 0
	s_cselect_b32 s8, s4, 56
	s_add_u32 s0, s6, 8
	s_addc_u32 s1, s7, 0
	s_and_b64 vcc, exec, s[10:11]
	s_cbranch_vccnz .LBB7_52
; %bb.49:                               ;   in Loop: Header=BB7_48 Depth=1
	s_cmp_eq_u64 s[4:5], 0
	s_cbranch_scc1 .LBB7_53
; %bb.50:                               ;   in Loop: Header=BB7_48 Depth=1
	v_mov_b32_e32 v6, 0
	s_lshl_b64 s[0:1], s[8:9], 3
	s_mov_b64 s[10:11], 0
	v_mov_b32_e32 v7, 0
	s_mov_b64 s[12:13], s[6:7]
.LBB7_51:                               ;   Parent Loop BB7_48 Depth=1
                                        ; =>  This Inner Loop Header: Depth=2
	global_load_ubyte v2, v28, s[12:13]
	s_waitcnt vmcnt(0)
	v_and_b32_e32 v27, 0xffff, v2
	v_lshlrev_b64 v[2:3], s10, v[27:28]
	s_add_u32 s10, s10, 8
	s_addc_u32 s11, s11, 0
	s_add_u32 s12, s12, 1
	s_addc_u32 s13, s13, 0
	v_or_b32_e32 v6, v2, v6
	s_cmp_lg_u32 s0, s10
	v_or_b32_e32 v7, v3, v7
	s_cbranch_scc1 .LBB7_51
	s_branch .LBB7_54
.LBB7_52:                               ;   in Loop: Header=BB7_48 Depth=1
	s_mov_b32 s14, 0
	s_branch .LBB7_55
.LBB7_53:                               ;   in Loop: Header=BB7_48 Depth=1
	v_mov_b32_e32 v6, 0
	v_mov_b32_e32 v7, 0
.LBB7_54:                               ;   in Loop: Header=BB7_48 Depth=1
	s_mov_b64 s[0:1], s[6:7]
	s_mov_b32 s14, 0
	s_cbranch_execnz .LBB7_56
.LBB7_55:                               ;   in Loop: Header=BB7_48 Depth=1
	global_load_dwordx2 v[6:7], v28, s[6:7]
	s_add_i32 s14, s8, -8
.LBB7_56:                               ;   in Loop: Header=BB7_48 Depth=1
	s_add_u32 s10, s0, 8
	s_addc_u32 s11, s1, 0
	s_cmp_gt_u32 s14, 7
	s_cbranch_scc1 .LBB7_60
; %bb.57:                               ;   in Loop: Header=BB7_48 Depth=1
	s_cmp_eq_u32 s14, 0
	s_cbranch_scc1 .LBB7_61
; %bb.58:                               ;   in Loop: Header=BB7_48 Depth=1
	v_mov_b32_e32 v12, 0
	s_mov_b64 s[10:11], 0
	v_mov_b32_e32 v13, 0
	s_mov_b64 s[12:13], 0
.LBB7_59:                               ;   Parent Loop BB7_48 Depth=1
                                        ; =>  This Inner Loop Header: Depth=2
	s_add_u32 s16, s0, s12
	s_addc_u32 s17, s1, s13
	global_load_ubyte v2, v28, s[16:17]
	s_add_u32 s12, s12, 1
	s_addc_u32 s13, s13, 0
	s_waitcnt vmcnt(0)
	v_and_b32_e32 v27, 0xffff, v2
	v_lshlrev_b64 v[2:3], s10, v[27:28]
	s_add_u32 s10, s10, 8
	s_addc_u32 s11, s11, 0
	v_or_b32_e32 v12, v2, v12
	s_cmp_lg_u32 s14, s12
	v_or_b32_e32 v13, v3, v13
	s_cbranch_scc1 .LBB7_59
	s_branch .LBB7_62
.LBB7_60:                               ;   in Loop: Header=BB7_48 Depth=1
                                        ; implicit-def: $vgpr12_vgpr13
	s_mov_b32 s15, 0
	s_branch .LBB7_63
.LBB7_61:                               ;   in Loop: Header=BB7_48 Depth=1
	v_mov_b32_e32 v12, 0
	v_mov_b32_e32 v13, 0
.LBB7_62:                               ;   in Loop: Header=BB7_48 Depth=1
	s_mov_b64 s[10:11], s[0:1]
	s_mov_b32 s15, 0
	s_cbranch_execnz .LBB7_64
.LBB7_63:                               ;   in Loop: Header=BB7_48 Depth=1
	global_load_dwordx2 v[12:13], v28, s[0:1]
	s_add_i32 s15, s14, -8
.LBB7_64:                               ;   in Loop: Header=BB7_48 Depth=1
	s_add_u32 s0, s10, 8
	s_addc_u32 s1, s11, 0
	s_cmp_gt_u32 s15, 7
	s_cbranch_scc1 .LBB7_68
; %bb.65:                               ;   in Loop: Header=BB7_48 Depth=1
	s_cmp_eq_u32 s15, 0
	s_cbranch_scc1 .LBB7_69
; %bb.66:                               ;   in Loop: Header=BB7_48 Depth=1
	v_mov_b32_e32 v14, 0
	s_mov_b64 s[0:1], 0
	v_mov_b32_e32 v15, 0
	s_mov_b64 s[12:13], 0
.LBB7_67:                               ;   Parent Loop BB7_48 Depth=1
                                        ; =>  This Inner Loop Header: Depth=2
	s_add_u32 s16, s10, s12
	s_addc_u32 s17, s11, s13
	global_load_ubyte v2, v28, s[16:17]
	s_add_u32 s12, s12, 1
	s_addc_u32 s13, s13, 0
	s_waitcnt vmcnt(0)
	v_and_b32_e32 v27, 0xffff, v2
	v_lshlrev_b64 v[2:3], s0, v[27:28]
	s_add_u32 s0, s0, 8
	s_addc_u32 s1, s1, 0
	v_or_b32_e32 v14, v2, v14
	s_cmp_lg_u32 s15, s12
	v_or_b32_e32 v15, v3, v15
	s_cbranch_scc1 .LBB7_67
	s_branch .LBB7_70
.LBB7_68:                               ;   in Loop: Header=BB7_48 Depth=1
	s_mov_b32 s14, 0
	s_branch .LBB7_71
.LBB7_69:                               ;   in Loop: Header=BB7_48 Depth=1
	v_mov_b32_e32 v14, 0
	v_mov_b32_e32 v15, 0
.LBB7_70:                               ;   in Loop: Header=BB7_48 Depth=1
	s_mov_b64 s[0:1], s[10:11]
	s_mov_b32 s14, 0
	s_cbranch_execnz .LBB7_72
.LBB7_71:                               ;   in Loop: Header=BB7_48 Depth=1
	global_load_dwordx2 v[14:15], v28, s[10:11]
	s_add_i32 s14, s15, -8
.LBB7_72:                               ;   in Loop: Header=BB7_48 Depth=1
	s_add_u32 s10, s0, 8
	s_addc_u32 s11, s1, 0
	s_cmp_gt_u32 s14, 7
	s_cbranch_scc1 .LBB7_76
; %bb.73:                               ;   in Loop: Header=BB7_48 Depth=1
	s_cmp_eq_u32 s14, 0
	s_cbranch_scc1 .LBB7_77
; %bb.74:                               ;   in Loop: Header=BB7_48 Depth=1
	v_mov_b32_e32 v16, 0
	s_mov_b64 s[10:11], 0
	v_mov_b32_e32 v17, 0
	s_mov_b64 s[12:13], 0
.LBB7_75:                               ;   Parent Loop BB7_48 Depth=1
                                        ; =>  This Inner Loop Header: Depth=2
	s_add_u32 s16, s0, s12
	s_addc_u32 s17, s1, s13
	global_load_ubyte v2, v28, s[16:17]
	s_add_u32 s12, s12, 1
	s_addc_u32 s13, s13, 0
	s_waitcnt vmcnt(0)
	v_and_b32_e32 v27, 0xffff, v2
	v_lshlrev_b64 v[2:3], s10, v[27:28]
	s_add_u32 s10, s10, 8
	s_addc_u32 s11, s11, 0
	v_or_b32_e32 v16, v2, v16
	s_cmp_lg_u32 s14, s12
	v_or_b32_e32 v17, v3, v17
	s_cbranch_scc1 .LBB7_75
	s_branch .LBB7_78
.LBB7_76:                               ;   in Loop: Header=BB7_48 Depth=1
                                        ; implicit-def: $vgpr16_vgpr17
	s_mov_b32 s15, 0
	s_branch .LBB7_79
.LBB7_77:                               ;   in Loop: Header=BB7_48 Depth=1
	v_mov_b32_e32 v16, 0
	v_mov_b32_e32 v17, 0
.LBB7_78:                               ;   in Loop: Header=BB7_48 Depth=1
	s_mov_b64 s[10:11], s[0:1]
	s_mov_b32 s15, 0
	s_cbranch_execnz .LBB7_80
.LBB7_79:                               ;   in Loop: Header=BB7_48 Depth=1
	global_load_dwordx2 v[16:17], v28, s[0:1]
	s_add_i32 s15, s14, -8
.LBB7_80:                               ;   in Loop: Header=BB7_48 Depth=1
	s_add_u32 s0, s10, 8
	s_addc_u32 s1, s11, 0
	s_cmp_gt_u32 s15, 7
	s_cbranch_scc1 .LBB7_84
; %bb.81:                               ;   in Loop: Header=BB7_48 Depth=1
	s_cmp_eq_u32 s15, 0
	s_cbranch_scc1 .LBB7_85
; %bb.82:                               ;   in Loop: Header=BB7_48 Depth=1
	v_mov_b32_e32 v18, 0
	s_mov_b64 s[0:1], 0
	v_mov_b32_e32 v19, 0
	s_mov_b64 s[12:13], 0
.LBB7_83:                               ;   Parent Loop BB7_48 Depth=1
                                        ; =>  This Inner Loop Header: Depth=2
	s_add_u32 s16, s10, s12
	s_addc_u32 s17, s11, s13
	global_load_ubyte v2, v28, s[16:17]
	s_add_u32 s12, s12, 1
	s_addc_u32 s13, s13, 0
	s_waitcnt vmcnt(0)
	v_and_b32_e32 v27, 0xffff, v2
	v_lshlrev_b64 v[2:3], s0, v[27:28]
	s_add_u32 s0, s0, 8
	s_addc_u32 s1, s1, 0
	v_or_b32_e32 v18, v2, v18
	s_cmp_lg_u32 s15, s12
	v_or_b32_e32 v19, v3, v19
	s_cbranch_scc1 .LBB7_83
	s_branch .LBB7_86
.LBB7_84:                               ;   in Loop: Header=BB7_48 Depth=1
	s_mov_b32 s14, 0
	s_branch .LBB7_87
.LBB7_85:                               ;   in Loop: Header=BB7_48 Depth=1
	v_mov_b32_e32 v18, 0
	v_mov_b32_e32 v19, 0
.LBB7_86:                               ;   in Loop: Header=BB7_48 Depth=1
	s_mov_b64 s[0:1], s[10:11]
	s_mov_b32 s14, 0
	s_cbranch_execnz .LBB7_88
.LBB7_87:                               ;   in Loop: Header=BB7_48 Depth=1
	global_load_dwordx2 v[18:19], v28, s[10:11]
	s_add_i32 s14, s15, -8
.LBB7_88:                               ;   in Loop: Header=BB7_48 Depth=1
	s_add_u32 s10, s0, 8
	s_addc_u32 s11, s1, 0
	s_cmp_gt_u32 s14, 7
	s_cbranch_scc1 .LBB7_92
; %bb.89:                               ;   in Loop: Header=BB7_48 Depth=1
	s_cmp_eq_u32 s14, 0
	s_cbranch_scc1 .LBB7_93
; %bb.90:                               ;   in Loop: Header=BB7_48 Depth=1
	v_mov_b32_e32 v20, 0
	s_mov_b64 s[10:11], 0
	v_mov_b32_e32 v21, 0
	s_mov_b64 s[12:13], 0
.LBB7_91:                               ;   Parent Loop BB7_48 Depth=1
                                        ; =>  This Inner Loop Header: Depth=2
	s_add_u32 s16, s0, s12
	s_addc_u32 s17, s1, s13
	global_load_ubyte v2, v28, s[16:17]
	s_add_u32 s12, s12, 1
	s_addc_u32 s13, s13, 0
	s_waitcnt vmcnt(0)
	v_and_b32_e32 v27, 0xffff, v2
	v_lshlrev_b64 v[2:3], s10, v[27:28]
	s_add_u32 s10, s10, 8
	s_addc_u32 s11, s11, 0
	v_or_b32_e32 v20, v2, v20
	s_cmp_lg_u32 s14, s12
	v_or_b32_e32 v21, v3, v21
	s_cbranch_scc1 .LBB7_91
	s_branch .LBB7_94
.LBB7_92:                               ;   in Loop: Header=BB7_48 Depth=1
                                        ; implicit-def: $vgpr20_vgpr21
	s_mov_b32 s15, 0
	s_branch .LBB7_95
.LBB7_93:                               ;   in Loop: Header=BB7_48 Depth=1
	v_mov_b32_e32 v20, 0
	v_mov_b32_e32 v21, 0
.LBB7_94:                               ;   in Loop: Header=BB7_48 Depth=1
	s_mov_b64 s[10:11], s[0:1]
	s_mov_b32 s15, 0
	s_cbranch_execnz .LBB7_96
.LBB7_95:                               ;   in Loop: Header=BB7_48 Depth=1
	global_load_dwordx2 v[20:21], v28, s[0:1]
	s_add_i32 s15, s14, -8
.LBB7_96:                               ;   in Loop: Header=BB7_48 Depth=1
	s_cmp_gt_u32 s15, 7
	s_cbranch_scc1 .LBB7_100
; %bb.97:                               ;   in Loop: Header=BB7_48 Depth=1
	s_cmp_eq_u32 s15, 0
	s_cbranch_scc1 .LBB7_101
; %bb.98:                               ;   in Loop: Header=BB7_48 Depth=1
	v_mov_b32_e32 v22, 0
	s_mov_b64 s[0:1], 0
	v_mov_b32_e32 v23, 0
	s_mov_b64 s[12:13], s[10:11]
.LBB7_99:                               ;   Parent Loop BB7_48 Depth=1
                                        ; =>  This Inner Loop Header: Depth=2
	global_load_ubyte v2, v28, s[12:13]
	s_add_i32 s15, s15, -1
	s_waitcnt vmcnt(0)
	v_and_b32_e32 v27, 0xffff, v2
	v_lshlrev_b64 v[2:3], s0, v[27:28]
	s_add_u32 s0, s0, 8
	s_addc_u32 s1, s1, 0
	s_add_u32 s12, s12, 1
	s_addc_u32 s13, s13, 0
	v_or_b32_e32 v22, v2, v22
	s_cmp_lg_u32 s15, 0
	v_or_b32_e32 v23, v3, v23
	s_cbranch_scc1 .LBB7_99
	s_branch .LBB7_102
.LBB7_100:                              ;   in Loop: Header=BB7_48 Depth=1
	s_branch .LBB7_103
.LBB7_101:                              ;   in Loop: Header=BB7_48 Depth=1
	v_mov_b32_e32 v22, 0
	v_mov_b32_e32 v23, 0
.LBB7_102:                              ;   in Loop: Header=BB7_48 Depth=1
	s_cbranch_execnz .LBB7_104
.LBB7_103:                              ;   in Loop: Header=BB7_48 Depth=1
	global_load_dwordx2 v[22:23], v28, s[10:11]
.LBB7_104:                              ;   in Loop: Header=BB7_48 Depth=1
	v_readfirstlane_b32 s0, v32
	v_mov_b32_e32 v2, 0
	v_mov_b32_e32 v3, 0
	v_cmp_eq_u32_e64 s[0:1], s0, v32
	s_and_saveexec_b64 s[10:11], s[0:1]
	s_cbranch_execz .LBB7_110
; %bb.105:                              ;   in Loop: Header=BB7_48 Depth=1
	global_load_dwordx2 v[26:27], v28, s[2:3] offset:24 glc
	s_waitcnt vmcnt(0)
	buffer_wbinvl1_vol
	global_load_dwordx2 v[2:3], v28, s[2:3] offset:40
	global_load_dwordx2 v[8:9], v28, s[2:3]
	s_waitcnt vmcnt(1)
	v_and_b32_e32 v2, v2, v26
	v_and_b32_e32 v3, v3, v27
	v_mul_lo_u32 v3, v3, 24
	v_mul_hi_u32 v24, v2, 24
	v_mul_lo_u32 v2, v2, 24
	v_add_u32_e32 v3, v24, v3
	s_waitcnt vmcnt(0)
	v_add_co_u32_e32 v2, vcc, v8, v2
	v_addc_co_u32_e32 v3, vcc, v9, v3, vcc
	global_load_dwordx2 v[24:25], v[2:3], off glc
	s_waitcnt vmcnt(0)
	global_atomic_cmpswap_x2 v[2:3], v28, v[24:27], s[2:3] offset:24 glc
	s_waitcnt vmcnt(0)
	buffer_wbinvl1_vol
	v_cmp_ne_u64_e32 vcc, v[2:3], v[26:27]
	s_and_saveexec_b64 s[12:13], vcc
	s_cbranch_execz .LBB7_109
; %bb.106:                              ;   in Loop: Header=BB7_48 Depth=1
	s_mov_b64 s[14:15], 0
.LBB7_107:                              ;   Parent Loop BB7_48 Depth=1
                                        ; =>  This Inner Loop Header: Depth=2
	s_sleep 1
	global_load_dwordx2 v[8:9], v28, s[2:3] offset:40
	global_load_dwordx2 v[24:25], v28, s[2:3]
	v_mov_b32_e32 v27, v3
	v_mov_b32_e32 v26, v2
	s_waitcnt vmcnt(1)
	v_and_b32_e32 v2, v8, v26
	s_waitcnt vmcnt(0)
	v_mad_u64_u32 v[2:3], s[16:17], v2, 24, v[24:25]
	v_and_b32_e32 v8, v9, v27
	v_mad_u64_u32 v[8:9], s[16:17], v8, 24, v[3:4]
	v_mov_b32_e32 v3, v8
	global_load_dwordx2 v[24:25], v[2:3], off glc
	s_waitcnt vmcnt(0)
	global_atomic_cmpswap_x2 v[2:3], v28, v[24:27], s[2:3] offset:24 glc
	s_waitcnt vmcnt(0)
	buffer_wbinvl1_vol
	v_cmp_eq_u64_e32 vcc, v[2:3], v[26:27]
	s_or_b64 s[14:15], vcc, s[14:15]
	s_andn2_b64 exec, exec, s[14:15]
	s_cbranch_execnz .LBB7_107
; %bb.108:                              ;   in Loop: Header=BB7_48 Depth=1
	s_or_b64 exec, exec, s[14:15]
.LBB7_109:                              ;   in Loop: Header=BB7_48 Depth=1
	s_or_b64 exec, exec, s[12:13]
.LBB7_110:                              ;   in Loop: Header=BB7_48 Depth=1
	s_or_b64 exec, exec, s[10:11]
	global_load_dwordx2 v[8:9], v28, s[2:3] offset:40
	global_load_dwordx4 v[24:27], v28, s[2:3]
	v_readfirstlane_b32 s11, v3
	v_readfirstlane_b32 s10, v2
	s_mov_b64 s[12:13], exec
	s_waitcnt vmcnt(1)
	v_readfirstlane_b32 s14, v8
	v_readfirstlane_b32 s15, v9
	s_and_b64 s[14:15], s[14:15], s[10:11]
	s_mul_i32 s16, s15, 24
	s_mul_hi_u32 s17, s14, 24
	s_mul_i32 s18, s14, 24
	s_add_i32 s16, s17, s16
	v_mov_b32_e32 v2, s16
	s_waitcnt vmcnt(0)
	v_add_co_u32_e32 v29, vcc, s18, v24
	v_addc_co_u32_e32 v30, vcc, v25, v2, vcc
	s_and_saveexec_b64 s[16:17], s[0:1]
	s_cbranch_execz .LBB7_112
; %bb.111:                              ;   in Loop: Header=BB7_48 Depth=1
	v_mov_b32_e32 v8, s12
	v_mov_b32_e32 v9, s13
	global_store_dwordx4 v[29:30], v[8:11], off offset:8
.LBB7_112:                              ;   in Loop: Header=BB7_48 Depth=1
	s_or_b64 exec, exec, s[16:17]
	s_lshl_b64 s[12:13], s[14:15], 12
	v_mov_b32_e32 v2, s13
	v_add_co_u32_e32 v8, vcc, s12, v26
	v_addc_co_u32_e32 v9, vcc, v27, v2, vcc
	v_cmp_lt_u64_e64 vcc, s[4:5], 57
	s_lshl_b32 s12, s8, 2
	v_cndmask_b32_e32 v2, 0, v33, vcc
	s_add_i32 s12, s12, 28
	v_and_b32_e32 v3, 0xffffff1f, v4
	s_and_b32 s12, s12, 0x1e0
	v_or_b32_e32 v2, v3, v2
	v_or_b32_e32 v4, s12, v2
	v_readfirstlane_b32 s12, v8
	v_readfirstlane_b32 s13, v9
	s_nop 4
	global_store_dwordx4 v31, v[4:7], s[12:13]
	global_store_dwordx4 v31, v[12:15], s[12:13] offset:16
	global_store_dwordx4 v31, v[16:19], s[12:13] offset:32
	;; [unrolled: 1-line block ×3, first 2 shown]
	s_and_saveexec_b64 s[12:13], s[0:1]
	s_cbranch_execz .LBB7_120
; %bb.113:                              ;   in Loop: Header=BB7_48 Depth=1
	global_load_dwordx2 v[14:15], v28, s[2:3] offset:32 glc
	global_load_dwordx2 v[2:3], v28, s[2:3] offset:40
	v_mov_b32_e32 v12, s10
	v_mov_b32_e32 v13, s11
	s_waitcnt vmcnt(0)
	v_readfirstlane_b32 s14, v2
	v_readfirstlane_b32 s15, v3
	s_and_b64 s[14:15], s[14:15], s[10:11]
	s_mul_i32 s15, s15, 24
	s_mul_hi_u32 s16, s14, 24
	s_mul_i32 s14, s14, 24
	s_add_i32 s15, s16, s15
	v_mov_b32_e32 v2, s15
	v_add_co_u32_e32 v6, vcc, s14, v24
	v_addc_co_u32_e32 v7, vcc, v25, v2, vcc
	global_store_dwordx2 v[6:7], v[14:15], off
	s_waitcnt vmcnt(0)
	global_atomic_cmpswap_x2 v[4:5], v28, v[12:15], s[2:3] offset:32 glc
	s_waitcnt vmcnt(0)
	v_cmp_ne_u64_e32 vcc, v[4:5], v[14:15]
	s_and_saveexec_b64 s[14:15], vcc
	s_cbranch_execz .LBB7_116
; %bb.114:                              ;   in Loop: Header=BB7_48 Depth=1
	s_mov_b64 s[16:17], 0
.LBB7_115:                              ;   Parent Loop BB7_48 Depth=1
                                        ; =>  This Inner Loop Header: Depth=2
	s_sleep 1
	global_store_dwordx2 v[6:7], v[4:5], off
	v_mov_b32_e32 v2, s10
	v_mov_b32_e32 v3, s11
	s_waitcnt vmcnt(0)
	global_atomic_cmpswap_x2 v[2:3], v28, v[2:5], s[2:3] offset:32 glc
	s_waitcnt vmcnt(0)
	v_cmp_eq_u64_e32 vcc, v[2:3], v[4:5]
	v_mov_b32_e32 v5, v3
	s_or_b64 s[16:17], vcc, s[16:17]
	v_mov_b32_e32 v4, v2
	s_andn2_b64 exec, exec, s[16:17]
	s_cbranch_execnz .LBB7_115
.LBB7_116:                              ;   in Loop: Header=BB7_48 Depth=1
	s_or_b64 exec, exec, s[14:15]
	global_load_dwordx2 v[2:3], v28, s[2:3] offset:16
	s_mov_b64 s[16:17], exec
	v_mbcnt_lo_u32_b32 v4, s16, 0
	v_mbcnt_hi_u32_b32 v4, s17, v4
	v_cmp_eq_u32_e32 vcc, 0, v4
	s_and_saveexec_b64 s[14:15], vcc
	s_cbranch_execz .LBB7_118
; %bb.117:                              ;   in Loop: Header=BB7_48 Depth=1
	s_bcnt1_i32_b64 s16, s[16:17]
	v_mov_b32_e32 v27, s16
	s_waitcnt vmcnt(0)
	global_atomic_add_x2 v[2:3], v[27:28], off offset:8
.LBB7_118:                              ;   in Loop: Header=BB7_48 Depth=1
	s_or_b64 exec, exec, s[14:15]
	s_waitcnt vmcnt(0)
	global_load_dwordx2 v[4:5], v[2:3], off offset:16
	s_waitcnt vmcnt(0)
	v_cmp_eq_u64_e32 vcc, 0, v[4:5]
	s_cbranch_vccnz .LBB7_120
; %bb.119:                              ;   in Loop: Header=BB7_48 Depth=1
	global_load_dword v27, v[2:3], off offset:24
	s_waitcnt vmcnt(0)
	v_readfirstlane_b32 s14, v27
	s_and_b32 m0, s14, 0xffffff
	global_store_dwordx2 v[4:5], v[27:28], off
	s_sendmsg sendmsg(MSG_INTERRUPT)
.LBB7_120:                              ;   in Loop: Header=BB7_48 Depth=1
	s_or_b64 exec, exec, s[12:13]
	v_add_co_u32_e32 v2, vcc, v8, v31
	v_addc_co_u32_e32 v3, vcc, 0, v9, vcc
	s_branch .LBB7_124
.LBB7_121:                              ;   in Loop: Header=BB7_124 Depth=2
	s_or_b64 exec, exec, s[12:13]
	v_readfirstlane_b32 s12, v4
	s_cmp_eq_u32 s12, 0
	s_cbranch_scc1 .LBB7_123
; %bb.122:                              ;   in Loop: Header=BB7_124 Depth=2
	s_sleep 1
	s_cbranch_execnz .LBB7_124
	s_branch .LBB7_126
.LBB7_123:                              ;   in Loop: Header=BB7_48 Depth=1
	s_branch .LBB7_126
.LBB7_124:                              ;   Parent Loop BB7_48 Depth=1
                                        ; =>  This Inner Loop Header: Depth=2
	v_mov_b32_e32 v4, 1
	s_and_saveexec_b64 s[12:13], s[0:1]
	s_cbranch_execz .LBB7_121
; %bb.125:                              ;   in Loop: Header=BB7_124 Depth=2
	global_load_dword v4, v[29:30], off offset:20 glc
	s_waitcnt vmcnt(0)
	buffer_wbinvl1_vol
	v_and_b32_e32 v4, 1, v4
	s_branch .LBB7_121
.LBB7_126:                              ;   in Loop: Header=BB7_48 Depth=1
	global_load_dwordx2 v[4:5], v[2:3], off
	s_and_saveexec_b64 s[12:13], s[0:1]
	s_cbranch_execz .LBB7_47
; %bb.127:                              ;   in Loop: Header=BB7_48 Depth=1
	global_load_dwordx2 v[2:3], v28, s[2:3] offset:40
	global_load_dwordx2 v[14:15], v28, s[2:3] offset:24 glc
	global_load_dwordx2 v[6:7], v28, s[2:3]
	s_waitcnt vmcnt(2)
	v_readfirstlane_b32 s14, v2
	v_readfirstlane_b32 s15, v3
	s_add_u32 s16, s14, 1
	s_addc_u32 s17, s15, 0
	s_add_u32 s0, s16, s10
	s_addc_u32 s1, s17, s11
	s_cmp_eq_u64 s[0:1], 0
	s_cselect_b32 s1, s17, s1
	s_cselect_b32 s0, s16, s0
	s_and_b64 s[10:11], s[0:1], s[14:15]
	s_mul_i32 s11, s11, 24
	s_mul_hi_u32 s14, s10, 24
	s_mul_i32 s10, s10, 24
	s_add_i32 s11, s14, s11
	v_mov_b32_e32 v3, s11
	s_waitcnt vmcnt(0)
	v_add_co_u32_e32 v2, vcc, s10, v6
	v_addc_co_u32_e32 v3, vcc, v7, v3, vcc
	v_mov_b32_e32 v12, s0
	global_store_dwordx2 v[2:3], v[14:15], off
	v_mov_b32_e32 v13, s1
	s_waitcnt vmcnt(0)
	global_atomic_cmpswap_x2 v[8:9], v28, v[12:15], s[2:3] offset:24 glc
	s_waitcnt vmcnt(0)
	v_cmp_ne_u64_e32 vcc, v[8:9], v[14:15]
	s_and_b64 exec, exec, vcc
	s_cbranch_execz .LBB7_47
; %bb.128:                              ;   in Loop: Header=BB7_48 Depth=1
	s_mov_b64 s[10:11], 0
.LBB7_129:                              ;   Parent Loop BB7_48 Depth=1
                                        ; =>  This Inner Loop Header: Depth=2
	s_sleep 1
	global_store_dwordx2 v[2:3], v[8:9], off
	v_mov_b32_e32 v6, s0
	v_mov_b32_e32 v7, s1
	s_waitcnt vmcnt(0)
	global_atomic_cmpswap_x2 v[6:7], v28, v[6:9], s[2:3] offset:24 glc
	s_waitcnt vmcnt(0)
	v_cmp_eq_u64_e32 vcc, v[6:7], v[8:9]
	v_mov_b32_e32 v9, v7
	s_or_b64 s[10:11], vcc, s[10:11]
	v_mov_b32_e32 v8, v6
	s_andn2_b64 exec, exec, s[10:11]
	s_cbranch_execnz .LBB7_129
	s_branch .LBB7_47
.LBB7_130:
	s_mov_b64 s[0:1], -1
                                        ; implicit-def: $vgpr4_vgpr5
	s_branch .LBB7_132
.LBB7_131:
	s_mov_b64 s[0:1], 0
.LBB7_132:
	s_and_b64 vcc, exec, s[0:1]
	s_cbranch_vccz .LBB7_159
; %bb.133:
	v_readfirstlane_b32 s0, v32
	v_mov_b32_e32 v8, 0
	v_mov_b32_e32 v9, 0
	v_cmp_eq_u32_e64 s[0:1], s0, v32
	s_and_saveexec_b64 s[4:5], s[0:1]
	s_cbranch_execz .LBB7_139
; %bb.134:
	v_mov_b32_e32 v2, 0
	global_load_dwordx2 v[5:6], v2, s[2:3] offset:24 glc
	s_waitcnt vmcnt(0)
	buffer_wbinvl1_vol
	global_load_dwordx2 v[3:4], v2, s[2:3] offset:40
	global_load_dwordx2 v[7:8], v2, s[2:3]
	s_waitcnt vmcnt(1)
	v_and_b32_e32 v3, v3, v5
	v_and_b32_e32 v4, v4, v6
	v_mul_lo_u32 v4, v4, 24
	v_mul_hi_u32 v9, v3, 24
	v_mul_lo_u32 v3, v3, 24
	v_add_u32_e32 v4, v9, v4
	s_waitcnt vmcnt(0)
	v_add_co_u32_e32 v3, vcc, v7, v3
	v_addc_co_u32_e32 v4, vcc, v8, v4, vcc
	global_load_dwordx2 v[3:4], v[3:4], off glc
	s_waitcnt vmcnt(0)
	global_atomic_cmpswap_x2 v[8:9], v2, v[3:6], s[2:3] offset:24 glc
	s_waitcnt vmcnt(0)
	buffer_wbinvl1_vol
	v_cmp_ne_u64_e32 vcc, v[8:9], v[5:6]
	s_and_saveexec_b64 s[6:7], vcc
	s_cbranch_execz .LBB7_138
; %bb.135:
	s_mov_b64 s[8:9], 0
.LBB7_136:                              ; =>This Inner Loop Header: Depth=1
	s_sleep 1
	global_load_dwordx2 v[3:4], v2, s[2:3] offset:40
	global_load_dwordx2 v[10:11], v2, s[2:3]
	v_mov_b32_e32 v5, v8
	v_mov_b32_e32 v6, v9
	s_waitcnt vmcnt(1)
	v_and_b32_e32 v3, v3, v5
	s_waitcnt vmcnt(0)
	v_mad_u64_u32 v[7:8], s[10:11], v3, 24, v[10:11]
	v_and_b32_e32 v4, v4, v6
	v_mov_b32_e32 v3, v8
	v_mad_u64_u32 v[3:4], s[10:11], v4, 24, v[3:4]
	v_mov_b32_e32 v8, v3
	global_load_dwordx2 v[3:4], v[7:8], off glc
	s_waitcnt vmcnt(0)
	global_atomic_cmpswap_x2 v[8:9], v2, v[3:6], s[2:3] offset:24 glc
	s_waitcnt vmcnt(0)
	buffer_wbinvl1_vol
	v_cmp_eq_u64_e32 vcc, v[8:9], v[5:6]
	s_or_b64 s[8:9], vcc, s[8:9]
	s_andn2_b64 exec, exec, s[8:9]
	s_cbranch_execnz .LBB7_136
; %bb.137:
	s_or_b64 exec, exec, s[8:9]
.LBB7_138:
	s_or_b64 exec, exec, s[6:7]
.LBB7_139:
	s_or_b64 exec, exec, s[4:5]
	v_mov_b32_e32 v2, 0
	global_load_dwordx2 v[10:11], v2, s[2:3] offset:40
	global_load_dwordx4 v[4:7], v2, s[2:3]
	v_readfirstlane_b32 s5, v9
	v_readfirstlane_b32 s4, v8
	s_mov_b64 s[6:7], exec
	s_waitcnt vmcnt(1)
	v_readfirstlane_b32 s8, v10
	v_readfirstlane_b32 s9, v11
	s_and_b64 s[8:9], s[8:9], s[4:5]
	s_mul_i32 s10, s9, 24
	s_mul_hi_u32 s11, s8, 24
	s_mul_i32 s12, s8, 24
	s_add_i32 s10, s11, s10
	v_mov_b32_e32 v3, s10
	s_waitcnt vmcnt(0)
	v_add_co_u32_e32 v8, vcc, s12, v4
	v_addc_co_u32_e32 v9, vcc, v5, v3, vcc
	s_and_saveexec_b64 s[10:11], s[0:1]
	s_cbranch_execz .LBB7_141
; %bb.140:
	v_mov_b32_e32 v11, s7
	v_mov_b32_e32 v10, s6
	v_mov_b32_e32 v12, 2
	v_mov_b32_e32 v13, 1
	global_store_dwordx4 v[8:9], v[10:13], off offset:8
.LBB7_141:
	s_or_b64 exec, exec, s[10:11]
	s_lshl_b64 s[6:7], s[8:9], 12
	v_mov_b32_e32 v3, s7
	v_add_co_u32_e32 v10, vcc, s6, v6
	v_addc_co_u32_e32 v11, vcc, v7, v3, vcc
	s_movk_i32 s6, 0xff1f
	v_and_or_b32 v0, v0, s6, 32
	s_mov_b32 s8, 0
	v_mov_b32_e32 v3, v2
	v_readfirstlane_b32 s6, v10
	v_readfirstlane_b32 s7, v11
	v_add_co_u32_e32 v6, vcc, v10, v31
	s_mov_b32 s9, s8
	s_mov_b32 s10, s8
	;; [unrolled: 1-line block ×3, first 2 shown]
	s_nop 0
	global_store_dwordx4 v31, v[0:3], s[6:7]
	v_addc_co_u32_e32 v7, vcc, 0, v11, vcc
	v_mov_b32_e32 v0, s8
	v_mov_b32_e32 v1, s9
	;; [unrolled: 1-line block ×4, first 2 shown]
	global_store_dwordx4 v31, v[0:3], s[6:7] offset:16
	global_store_dwordx4 v31, v[0:3], s[6:7] offset:32
	;; [unrolled: 1-line block ×3, first 2 shown]
	s_and_saveexec_b64 s[6:7], s[0:1]
	s_cbranch_execz .LBB7_149
; %bb.142:
	v_mov_b32_e32 v10, 0
	global_load_dwordx2 v[13:14], v10, s[2:3] offset:32 glc
	global_load_dwordx2 v[0:1], v10, s[2:3] offset:40
	v_mov_b32_e32 v11, s4
	v_mov_b32_e32 v12, s5
	s_waitcnt vmcnt(0)
	v_readfirstlane_b32 s8, v0
	v_readfirstlane_b32 s9, v1
	s_and_b64 s[8:9], s[8:9], s[4:5]
	s_mul_i32 s9, s9, 24
	s_mul_hi_u32 s10, s8, 24
	s_mul_i32 s8, s8, 24
	s_add_i32 s9, s10, s9
	v_mov_b32_e32 v0, s9
	v_add_co_u32_e32 v4, vcc, s8, v4
	v_addc_co_u32_e32 v5, vcc, v5, v0, vcc
	global_store_dwordx2 v[4:5], v[13:14], off
	s_waitcnt vmcnt(0)
	global_atomic_cmpswap_x2 v[2:3], v10, v[11:14], s[2:3] offset:32 glc
	s_waitcnt vmcnt(0)
	v_cmp_ne_u64_e32 vcc, v[2:3], v[13:14]
	s_and_saveexec_b64 s[8:9], vcc
	s_cbranch_execz .LBB7_145
; %bb.143:
	s_mov_b64 s[10:11], 0
.LBB7_144:                              ; =>This Inner Loop Header: Depth=1
	s_sleep 1
	global_store_dwordx2 v[4:5], v[2:3], off
	v_mov_b32_e32 v0, s4
	v_mov_b32_e32 v1, s5
	s_waitcnt vmcnt(0)
	global_atomic_cmpswap_x2 v[0:1], v10, v[0:3], s[2:3] offset:32 glc
	s_waitcnt vmcnt(0)
	v_cmp_eq_u64_e32 vcc, v[0:1], v[2:3]
	v_mov_b32_e32 v3, v1
	s_or_b64 s[10:11], vcc, s[10:11]
	v_mov_b32_e32 v2, v0
	s_andn2_b64 exec, exec, s[10:11]
	s_cbranch_execnz .LBB7_144
.LBB7_145:
	s_or_b64 exec, exec, s[8:9]
	v_mov_b32_e32 v3, 0
	global_load_dwordx2 v[0:1], v3, s[2:3] offset:16
	s_mov_b64 s[8:9], exec
	v_mbcnt_lo_u32_b32 v2, s8, 0
	v_mbcnt_hi_u32_b32 v2, s9, v2
	v_cmp_eq_u32_e32 vcc, 0, v2
	s_and_saveexec_b64 s[10:11], vcc
	s_cbranch_execz .LBB7_147
; %bb.146:
	s_bcnt1_i32_b64 s8, s[8:9]
	v_mov_b32_e32 v2, s8
	s_waitcnt vmcnt(0)
	global_atomic_add_x2 v[0:1], v[2:3], off offset:8
.LBB7_147:
	s_or_b64 exec, exec, s[10:11]
	s_waitcnt vmcnt(0)
	global_load_dwordx2 v[2:3], v[0:1], off offset:16
	s_waitcnt vmcnt(0)
	v_cmp_eq_u64_e32 vcc, 0, v[2:3]
	s_cbranch_vccnz .LBB7_149
; %bb.148:
	global_load_dword v0, v[0:1], off offset:24
	v_mov_b32_e32 v1, 0
	s_waitcnt vmcnt(0)
	v_readfirstlane_b32 s8, v0
	s_and_b32 m0, s8, 0xffffff
	global_store_dwordx2 v[2:3], v[0:1], off
	s_sendmsg sendmsg(MSG_INTERRUPT)
.LBB7_149:
	s_or_b64 exec, exec, s[6:7]
	s_branch .LBB7_153
.LBB7_150:                              ;   in Loop: Header=BB7_153 Depth=1
	s_or_b64 exec, exec, s[6:7]
	v_readfirstlane_b32 s6, v0
	s_cmp_eq_u32 s6, 0
	s_cbranch_scc1 .LBB7_152
; %bb.151:                              ;   in Loop: Header=BB7_153 Depth=1
	s_sleep 1
	s_cbranch_execnz .LBB7_153
	s_branch .LBB7_155
.LBB7_152:
	s_branch .LBB7_155
.LBB7_153:                              ; =>This Inner Loop Header: Depth=1
	v_mov_b32_e32 v0, 1
	s_and_saveexec_b64 s[6:7], s[0:1]
	s_cbranch_execz .LBB7_150
; %bb.154:                              ;   in Loop: Header=BB7_153 Depth=1
	global_load_dword v0, v[8:9], off offset:20 glc
	s_waitcnt vmcnt(0)
	buffer_wbinvl1_vol
	v_and_b32_e32 v0, 1, v0
	s_branch .LBB7_150
.LBB7_155:
	global_load_dwordx2 v[4:5], v[6:7], off
	s_and_saveexec_b64 s[6:7], s[0:1]
	s_cbranch_execz .LBB7_158
; %bb.156:
	v_mov_b32_e32 v8, 0
	global_load_dwordx2 v[0:1], v8, s[2:3] offset:40
	global_load_dwordx2 v[11:12], v8, s[2:3] offset:24 glc
	global_load_dwordx2 v[2:3], v8, s[2:3]
	s_waitcnt vmcnt(2)
	v_readfirstlane_b32 s8, v0
	v_readfirstlane_b32 s9, v1
	s_add_u32 s10, s8, 1
	s_addc_u32 s11, s9, 0
	s_add_u32 s0, s10, s4
	s_addc_u32 s1, s11, s5
	s_cmp_eq_u64 s[0:1], 0
	s_cselect_b32 s1, s11, s1
	s_cselect_b32 s0, s10, s0
	s_and_b64 s[4:5], s[0:1], s[8:9]
	s_mul_i32 s5, s5, 24
	s_mul_hi_u32 s8, s4, 24
	s_mul_i32 s4, s4, 24
	s_add_i32 s5, s8, s5
	v_mov_b32_e32 v0, s5
	s_waitcnt vmcnt(0)
	v_add_co_u32_e32 v6, vcc, s4, v2
	v_addc_co_u32_e32 v7, vcc, v3, v0, vcc
	v_mov_b32_e32 v9, s0
	global_store_dwordx2 v[6:7], v[11:12], off
	v_mov_b32_e32 v10, s1
	s_waitcnt vmcnt(0)
	global_atomic_cmpswap_x2 v[2:3], v8, v[9:12], s[2:3] offset:24 glc
	s_mov_b64 s[4:5], 0
	s_waitcnt vmcnt(0)
	v_cmp_ne_u64_e32 vcc, v[2:3], v[11:12]
	s_and_b64 exec, exec, vcc
	s_cbranch_execz .LBB7_158
.LBB7_157:                              ; =>This Inner Loop Header: Depth=1
	s_sleep 1
	global_store_dwordx2 v[6:7], v[2:3], off
	v_mov_b32_e32 v0, s0
	v_mov_b32_e32 v1, s1
	s_waitcnt vmcnt(0)
	global_atomic_cmpswap_x2 v[0:1], v8, v[0:3], s[2:3] offset:24 glc
	s_waitcnt vmcnt(0)
	v_cmp_eq_u64_e32 vcc, v[0:1], v[2:3]
	v_mov_b32_e32 v3, v1
	s_or_b64 s[4:5], vcc, s[4:5]
	v_mov_b32_e32 v2, v0
	s_andn2_b64 exec, exec, s[4:5]
	s_cbranch_execnz .LBB7_157
.LBB7_158:
	s_or_b64 exec, exec, s[6:7]
.LBB7_159:
	s_getpc_b64 s[4:5]
	s_add_u32 s4, s4, .str.1@rel32@lo+4
	s_addc_u32 s5, s5, .str.1@rel32@hi+12
	s_cmp_lg_u64 s[4:5], 0
	s_cbranch_scc0 .LBB7_244
; %bb.160:
	s_waitcnt vmcnt(0)
	v_and_b32_e32 v29, 2, v4
	v_mov_b32_e32 v26, 0
	v_and_b32_e32 v0, -3, v4
	v_mov_b32_e32 v1, v5
	s_mov_b64 s[6:7], 0x61
	v_mov_b32_e32 v8, 2
	v_mov_b32_e32 v9, 1
	s_branch .LBB7_162
.LBB7_161:                              ;   in Loop: Header=BB7_162 Depth=1
	s_or_b64 exec, exec, s[12:13]
	s_sub_u32 s6, s6, s8
	s_subb_u32 s7, s7, s9
	s_add_u32 s4, s4, s8
	s_addc_u32 s5, s5, s9
	s_cmp_lg_u64 s[6:7], 0
	s_cbranch_scc0 .LBB7_245
.LBB7_162:                              ; =>This Loop Header: Depth=1
                                        ;     Child Loop BB7_165 Depth 2
                                        ;     Child Loop BB7_173 Depth 2
                                        ;     Child Loop BB7_181 Depth 2
                                        ;     Child Loop BB7_189 Depth 2
                                        ;     Child Loop BB7_197 Depth 2
                                        ;     Child Loop BB7_205 Depth 2
                                        ;     Child Loop BB7_213 Depth 2
                                        ;     Child Loop BB7_221 Depth 2
                                        ;     Child Loop BB7_229 Depth 2
                                        ;     Child Loop BB7_238 Depth 2
                                        ;     Child Loop BB7_243 Depth 2
	v_cmp_lt_u64_e64 s[0:1], s[6:7], 56
	v_cmp_gt_u64_e64 s[10:11], s[6:7], 7
	s_and_b64 s[0:1], s[0:1], exec
	s_cselect_b32 s9, s7, 0
	s_cselect_b32 s8, s6, 56
	s_add_u32 s0, s4, 8
	s_addc_u32 s1, s5, 0
	s_and_b64 vcc, exec, s[10:11]
	s_cbranch_vccnz .LBB7_166
; %bb.163:                              ;   in Loop: Header=BB7_162 Depth=1
	s_cmp_eq_u64 s[6:7], 0
	s_cbranch_scc1 .LBB7_167
; %bb.164:                              ;   in Loop: Header=BB7_162 Depth=1
	v_mov_b32_e32 v2, 0
	s_lshl_b64 s[0:1], s[8:9], 3
	s_mov_b64 s[10:11], 0
	v_mov_b32_e32 v3, 0
	s_mov_b64 s[12:13], s[4:5]
.LBB7_165:                              ;   Parent Loop BB7_162 Depth=1
                                        ; =>  This Inner Loop Header: Depth=2
	global_load_ubyte v6, v26, s[12:13]
	s_waitcnt vmcnt(0)
	v_and_b32_e32 v25, 0xffff, v6
	v_lshlrev_b64 v[6:7], s10, v[25:26]
	s_add_u32 s10, s10, 8
	s_addc_u32 s11, s11, 0
	s_add_u32 s12, s12, 1
	s_addc_u32 s13, s13, 0
	v_or_b32_e32 v2, v6, v2
	s_cmp_lg_u32 s0, s10
	v_or_b32_e32 v3, v7, v3
	s_cbranch_scc1 .LBB7_165
	s_branch .LBB7_168
.LBB7_166:                              ;   in Loop: Header=BB7_162 Depth=1
	s_mov_b32 s14, 0
	s_branch .LBB7_169
.LBB7_167:                              ;   in Loop: Header=BB7_162 Depth=1
	v_mov_b32_e32 v2, 0
	v_mov_b32_e32 v3, 0
.LBB7_168:                              ;   in Loop: Header=BB7_162 Depth=1
	s_mov_b64 s[0:1], s[4:5]
	s_mov_b32 s14, 0
	s_cbranch_execnz .LBB7_170
.LBB7_169:                              ;   in Loop: Header=BB7_162 Depth=1
	global_load_dwordx2 v[2:3], v26, s[4:5]
	s_add_i32 s14, s8, -8
.LBB7_170:                              ;   in Loop: Header=BB7_162 Depth=1
	s_add_u32 s10, s0, 8
	s_addc_u32 s11, s1, 0
	s_cmp_gt_u32 s14, 7
	s_cbranch_scc1 .LBB7_174
; %bb.171:                              ;   in Loop: Header=BB7_162 Depth=1
	s_cmp_eq_u32 s14, 0
	s_cbranch_scc1 .LBB7_175
; %bb.172:                              ;   in Loop: Header=BB7_162 Depth=1
	v_mov_b32_e32 v10, 0
	s_mov_b64 s[10:11], 0
	v_mov_b32_e32 v11, 0
	s_mov_b64 s[12:13], 0
.LBB7_173:                              ;   Parent Loop BB7_162 Depth=1
                                        ; =>  This Inner Loop Header: Depth=2
	s_add_u32 s16, s0, s12
	s_addc_u32 s17, s1, s13
	global_load_ubyte v6, v26, s[16:17]
	s_add_u32 s12, s12, 1
	s_addc_u32 s13, s13, 0
	s_waitcnt vmcnt(0)
	v_and_b32_e32 v25, 0xffff, v6
	v_lshlrev_b64 v[6:7], s10, v[25:26]
	s_add_u32 s10, s10, 8
	s_addc_u32 s11, s11, 0
	v_or_b32_e32 v10, v6, v10
	s_cmp_lg_u32 s14, s12
	v_or_b32_e32 v11, v7, v11
	s_cbranch_scc1 .LBB7_173
	s_branch .LBB7_176
.LBB7_174:                              ;   in Loop: Header=BB7_162 Depth=1
                                        ; implicit-def: $vgpr10_vgpr11
	s_mov_b32 s15, 0
	s_branch .LBB7_177
.LBB7_175:                              ;   in Loop: Header=BB7_162 Depth=1
	v_mov_b32_e32 v10, 0
	v_mov_b32_e32 v11, 0
.LBB7_176:                              ;   in Loop: Header=BB7_162 Depth=1
	s_mov_b64 s[10:11], s[0:1]
	s_mov_b32 s15, 0
	s_cbranch_execnz .LBB7_178
.LBB7_177:                              ;   in Loop: Header=BB7_162 Depth=1
	global_load_dwordx2 v[10:11], v26, s[0:1]
	s_add_i32 s15, s14, -8
.LBB7_178:                              ;   in Loop: Header=BB7_162 Depth=1
	s_add_u32 s0, s10, 8
	s_addc_u32 s1, s11, 0
	s_cmp_gt_u32 s15, 7
	s_cbranch_scc1 .LBB7_182
; %bb.179:                              ;   in Loop: Header=BB7_162 Depth=1
	s_cmp_eq_u32 s15, 0
	s_cbranch_scc1 .LBB7_183
; %bb.180:                              ;   in Loop: Header=BB7_162 Depth=1
	v_mov_b32_e32 v12, 0
	s_mov_b64 s[0:1], 0
	v_mov_b32_e32 v13, 0
	s_mov_b64 s[12:13], 0
.LBB7_181:                              ;   Parent Loop BB7_162 Depth=1
                                        ; =>  This Inner Loop Header: Depth=2
	s_add_u32 s16, s10, s12
	s_addc_u32 s17, s11, s13
	global_load_ubyte v6, v26, s[16:17]
	s_add_u32 s12, s12, 1
	s_addc_u32 s13, s13, 0
	s_waitcnt vmcnt(0)
	v_and_b32_e32 v25, 0xffff, v6
	v_lshlrev_b64 v[6:7], s0, v[25:26]
	s_add_u32 s0, s0, 8
	s_addc_u32 s1, s1, 0
	v_or_b32_e32 v12, v6, v12
	s_cmp_lg_u32 s15, s12
	v_or_b32_e32 v13, v7, v13
	s_cbranch_scc1 .LBB7_181
	s_branch .LBB7_184
.LBB7_182:                              ;   in Loop: Header=BB7_162 Depth=1
	s_mov_b32 s14, 0
	s_branch .LBB7_185
.LBB7_183:                              ;   in Loop: Header=BB7_162 Depth=1
	v_mov_b32_e32 v12, 0
	v_mov_b32_e32 v13, 0
.LBB7_184:                              ;   in Loop: Header=BB7_162 Depth=1
	s_mov_b64 s[0:1], s[10:11]
	s_mov_b32 s14, 0
	s_cbranch_execnz .LBB7_186
.LBB7_185:                              ;   in Loop: Header=BB7_162 Depth=1
	global_load_dwordx2 v[12:13], v26, s[10:11]
	s_add_i32 s14, s15, -8
.LBB7_186:                              ;   in Loop: Header=BB7_162 Depth=1
	s_add_u32 s10, s0, 8
	s_addc_u32 s11, s1, 0
	s_cmp_gt_u32 s14, 7
	s_cbranch_scc1 .LBB7_190
; %bb.187:                              ;   in Loop: Header=BB7_162 Depth=1
	s_cmp_eq_u32 s14, 0
	s_cbranch_scc1 .LBB7_191
; %bb.188:                              ;   in Loop: Header=BB7_162 Depth=1
	v_mov_b32_e32 v14, 0
	s_mov_b64 s[10:11], 0
	v_mov_b32_e32 v15, 0
	s_mov_b64 s[12:13], 0
.LBB7_189:                              ;   Parent Loop BB7_162 Depth=1
                                        ; =>  This Inner Loop Header: Depth=2
	s_add_u32 s16, s0, s12
	s_addc_u32 s17, s1, s13
	global_load_ubyte v6, v26, s[16:17]
	s_add_u32 s12, s12, 1
	s_addc_u32 s13, s13, 0
	s_waitcnt vmcnt(0)
	v_and_b32_e32 v25, 0xffff, v6
	v_lshlrev_b64 v[6:7], s10, v[25:26]
	s_add_u32 s10, s10, 8
	s_addc_u32 s11, s11, 0
	v_or_b32_e32 v14, v6, v14
	s_cmp_lg_u32 s14, s12
	v_or_b32_e32 v15, v7, v15
	s_cbranch_scc1 .LBB7_189
	s_branch .LBB7_192
.LBB7_190:                              ;   in Loop: Header=BB7_162 Depth=1
                                        ; implicit-def: $vgpr14_vgpr15
	s_mov_b32 s15, 0
	s_branch .LBB7_193
.LBB7_191:                              ;   in Loop: Header=BB7_162 Depth=1
	v_mov_b32_e32 v14, 0
	v_mov_b32_e32 v15, 0
.LBB7_192:                              ;   in Loop: Header=BB7_162 Depth=1
	s_mov_b64 s[10:11], s[0:1]
	s_mov_b32 s15, 0
	s_cbranch_execnz .LBB7_194
.LBB7_193:                              ;   in Loop: Header=BB7_162 Depth=1
	global_load_dwordx2 v[14:15], v26, s[0:1]
	s_add_i32 s15, s14, -8
.LBB7_194:                              ;   in Loop: Header=BB7_162 Depth=1
	s_add_u32 s0, s10, 8
	s_addc_u32 s1, s11, 0
	s_cmp_gt_u32 s15, 7
	s_cbranch_scc1 .LBB7_198
; %bb.195:                              ;   in Loop: Header=BB7_162 Depth=1
	s_cmp_eq_u32 s15, 0
	s_cbranch_scc1 .LBB7_199
; %bb.196:                              ;   in Loop: Header=BB7_162 Depth=1
	v_mov_b32_e32 v16, 0
	s_mov_b64 s[0:1], 0
	v_mov_b32_e32 v17, 0
	s_mov_b64 s[12:13], 0
.LBB7_197:                              ;   Parent Loop BB7_162 Depth=1
                                        ; =>  This Inner Loop Header: Depth=2
	s_add_u32 s16, s10, s12
	s_addc_u32 s17, s11, s13
	global_load_ubyte v6, v26, s[16:17]
	s_add_u32 s12, s12, 1
	s_addc_u32 s13, s13, 0
	s_waitcnt vmcnt(0)
	v_and_b32_e32 v25, 0xffff, v6
	v_lshlrev_b64 v[6:7], s0, v[25:26]
	s_add_u32 s0, s0, 8
	s_addc_u32 s1, s1, 0
	v_or_b32_e32 v16, v6, v16
	s_cmp_lg_u32 s15, s12
	v_or_b32_e32 v17, v7, v17
	s_cbranch_scc1 .LBB7_197
	s_branch .LBB7_200
.LBB7_198:                              ;   in Loop: Header=BB7_162 Depth=1
	s_mov_b32 s14, 0
	s_branch .LBB7_201
.LBB7_199:                              ;   in Loop: Header=BB7_162 Depth=1
	v_mov_b32_e32 v16, 0
	v_mov_b32_e32 v17, 0
.LBB7_200:                              ;   in Loop: Header=BB7_162 Depth=1
	s_mov_b64 s[0:1], s[10:11]
	s_mov_b32 s14, 0
	s_cbranch_execnz .LBB7_202
.LBB7_201:                              ;   in Loop: Header=BB7_162 Depth=1
	global_load_dwordx2 v[16:17], v26, s[10:11]
	s_add_i32 s14, s15, -8
.LBB7_202:                              ;   in Loop: Header=BB7_162 Depth=1
	s_add_u32 s10, s0, 8
	s_addc_u32 s11, s1, 0
	s_cmp_gt_u32 s14, 7
	s_cbranch_scc1 .LBB7_206
; %bb.203:                              ;   in Loop: Header=BB7_162 Depth=1
	s_cmp_eq_u32 s14, 0
	s_cbranch_scc1 .LBB7_207
; %bb.204:                              ;   in Loop: Header=BB7_162 Depth=1
	v_mov_b32_e32 v18, 0
	s_mov_b64 s[10:11], 0
	v_mov_b32_e32 v19, 0
	s_mov_b64 s[12:13], 0
.LBB7_205:                              ;   Parent Loop BB7_162 Depth=1
                                        ; =>  This Inner Loop Header: Depth=2
	s_add_u32 s16, s0, s12
	s_addc_u32 s17, s1, s13
	global_load_ubyte v6, v26, s[16:17]
	s_add_u32 s12, s12, 1
	s_addc_u32 s13, s13, 0
	s_waitcnt vmcnt(0)
	v_and_b32_e32 v25, 0xffff, v6
	v_lshlrev_b64 v[6:7], s10, v[25:26]
	s_add_u32 s10, s10, 8
	s_addc_u32 s11, s11, 0
	v_or_b32_e32 v18, v6, v18
	s_cmp_lg_u32 s14, s12
	v_or_b32_e32 v19, v7, v19
	s_cbranch_scc1 .LBB7_205
	s_branch .LBB7_208
.LBB7_206:                              ;   in Loop: Header=BB7_162 Depth=1
                                        ; implicit-def: $vgpr18_vgpr19
	s_mov_b32 s15, 0
	s_branch .LBB7_209
.LBB7_207:                              ;   in Loop: Header=BB7_162 Depth=1
	v_mov_b32_e32 v18, 0
	v_mov_b32_e32 v19, 0
.LBB7_208:                              ;   in Loop: Header=BB7_162 Depth=1
	s_mov_b64 s[10:11], s[0:1]
	s_mov_b32 s15, 0
	s_cbranch_execnz .LBB7_210
.LBB7_209:                              ;   in Loop: Header=BB7_162 Depth=1
	global_load_dwordx2 v[18:19], v26, s[0:1]
	s_add_i32 s15, s14, -8
.LBB7_210:                              ;   in Loop: Header=BB7_162 Depth=1
	s_cmp_gt_u32 s15, 7
	s_cbranch_scc1 .LBB7_214
; %bb.211:                              ;   in Loop: Header=BB7_162 Depth=1
	s_cmp_eq_u32 s15, 0
	s_cbranch_scc1 .LBB7_215
; %bb.212:                              ;   in Loop: Header=BB7_162 Depth=1
	v_mov_b32_e32 v20, 0
	s_mov_b64 s[0:1], 0
	v_mov_b32_e32 v21, 0
	s_mov_b64 s[12:13], s[10:11]
.LBB7_213:                              ;   Parent Loop BB7_162 Depth=1
                                        ; =>  This Inner Loop Header: Depth=2
	global_load_ubyte v6, v26, s[12:13]
	s_add_i32 s15, s15, -1
	s_waitcnt vmcnt(0)
	v_and_b32_e32 v25, 0xffff, v6
	v_lshlrev_b64 v[6:7], s0, v[25:26]
	s_add_u32 s0, s0, 8
	s_addc_u32 s1, s1, 0
	s_add_u32 s12, s12, 1
	s_addc_u32 s13, s13, 0
	v_or_b32_e32 v20, v6, v20
	s_cmp_lg_u32 s15, 0
	v_or_b32_e32 v21, v7, v21
	s_cbranch_scc1 .LBB7_213
	s_branch .LBB7_216
.LBB7_214:                              ;   in Loop: Header=BB7_162 Depth=1
	s_branch .LBB7_217
.LBB7_215:                              ;   in Loop: Header=BB7_162 Depth=1
	v_mov_b32_e32 v20, 0
	v_mov_b32_e32 v21, 0
.LBB7_216:                              ;   in Loop: Header=BB7_162 Depth=1
	s_cbranch_execnz .LBB7_218
.LBB7_217:                              ;   in Loop: Header=BB7_162 Depth=1
	global_load_dwordx2 v[20:21], v26, s[10:11]
.LBB7_218:                              ;   in Loop: Header=BB7_162 Depth=1
	v_readfirstlane_b32 s0, v32
	v_mov_b32_e32 v6, 0
	v_mov_b32_e32 v7, 0
	v_cmp_eq_u32_e64 s[0:1], s0, v32
	s_and_saveexec_b64 s[10:11], s[0:1]
	s_cbranch_execz .LBB7_224
; %bb.219:                              ;   in Loop: Header=BB7_162 Depth=1
	global_load_dwordx2 v[24:25], v26, s[2:3] offset:24 glc
	s_waitcnt vmcnt(0)
	buffer_wbinvl1_vol
	global_load_dwordx2 v[6:7], v26, s[2:3] offset:40
	global_load_dwordx2 v[22:23], v26, s[2:3]
	s_waitcnt vmcnt(1)
	v_and_b32_e32 v6, v6, v24
	v_and_b32_e32 v7, v7, v25
	v_mul_lo_u32 v7, v7, 24
	v_mul_hi_u32 v27, v6, 24
	v_mul_lo_u32 v6, v6, 24
	v_add_u32_e32 v7, v27, v7
	s_waitcnt vmcnt(0)
	v_add_co_u32_e32 v6, vcc, v22, v6
	v_addc_co_u32_e32 v7, vcc, v23, v7, vcc
	global_load_dwordx2 v[22:23], v[6:7], off glc
	s_waitcnt vmcnt(0)
	global_atomic_cmpswap_x2 v[6:7], v26, v[22:25], s[2:3] offset:24 glc
	s_waitcnt vmcnt(0)
	buffer_wbinvl1_vol
	v_cmp_ne_u64_e32 vcc, v[6:7], v[24:25]
	s_and_saveexec_b64 s[12:13], vcc
	s_cbranch_execz .LBB7_223
; %bb.220:                              ;   in Loop: Header=BB7_162 Depth=1
	s_mov_b64 s[14:15], 0
.LBB7_221:                              ;   Parent Loop BB7_162 Depth=1
                                        ; =>  This Inner Loop Header: Depth=2
	s_sleep 1
	global_load_dwordx2 v[22:23], v26, s[2:3] offset:40
	global_load_dwordx2 v[27:28], v26, s[2:3]
	v_mov_b32_e32 v25, v7
	v_mov_b32_e32 v24, v6
	s_waitcnt vmcnt(1)
	v_and_b32_e32 v6, v22, v24
	s_waitcnt vmcnt(0)
	v_mad_u64_u32 v[6:7], s[16:17], v6, 24, v[27:28]
	v_and_b32_e32 v22, v23, v25
	v_mad_u64_u32 v[22:23], s[16:17], v22, 24, v[7:8]
	v_mov_b32_e32 v7, v22
	global_load_dwordx2 v[22:23], v[6:7], off glc
	s_waitcnt vmcnt(0)
	global_atomic_cmpswap_x2 v[6:7], v26, v[22:25], s[2:3] offset:24 glc
	s_waitcnt vmcnt(0)
	buffer_wbinvl1_vol
	v_cmp_eq_u64_e32 vcc, v[6:7], v[24:25]
	s_or_b64 s[14:15], vcc, s[14:15]
	s_andn2_b64 exec, exec, s[14:15]
	s_cbranch_execnz .LBB7_221
; %bb.222:                              ;   in Loop: Header=BB7_162 Depth=1
	s_or_b64 exec, exec, s[14:15]
.LBB7_223:                              ;   in Loop: Header=BB7_162 Depth=1
	s_or_b64 exec, exec, s[12:13]
.LBB7_224:                              ;   in Loop: Header=BB7_162 Depth=1
	s_or_b64 exec, exec, s[10:11]
	global_load_dwordx2 v[27:28], v26, s[2:3] offset:40
	global_load_dwordx4 v[22:25], v26, s[2:3]
	v_readfirstlane_b32 s11, v7
	v_readfirstlane_b32 s10, v6
	s_mov_b64 s[12:13], exec
	s_waitcnt vmcnt(1)
	v_readfirstlane_b32 s14, v27
	v_readfirstlane_b32 s15, v28
	s_and_b64 s[14:15], s[14:15], s[10:11]
	s_mul_i32 s16, s15, 24
	s_mul_hi_u32 s17, s14, 24
	s_mul_i32 s18, s14, 24
	s_add_i32 s16, s17, s16
	v_mov_b32_e32 v6, s16
	s_waitcnt vmcnt(0)
	v_add_co_u32_e32 v27, vcc, s18, v22
	v_addc_co_u32_e32 v28, vcc, v23, v6, vcc
	s_and_saveexec_b64 s[16:17], s[0:1]
	s_cbranch_execz .LBB7_226
; %bb.225:                              ;   in Loop: Header=BB7_162 Depth=1
	v_mov_b32_e32 v6, s12
	v_mov_b32_e32 v7, s13
	global_store_dwordx4 v[27:28], v[6:9], off offset:8
.LBB7_226:                              ;   in Loop: Header=BB7_162 Depth=1
	s_or_b64 exec, exec, s[16:17]
	s_lshl_b64 s[12:13], s[14:15], 12
	v_mov_b32_e32 v6, s13
	v_add_co_u32_e32 v24, vcc, s12, v24
	v_addc_co_u32_e32 v30, vcc, v25, v6, vcc
	v_cmp_lt_u64_e64 vcc, s[6:7], 57
	s_lshl_b32 s12, s8, 2
	v_cndmask_b32_e32 v6, 0, v29, vcc
	s_add_i32 s12, s12, 28
	v_and_b32_e32 v0, 0xffffff1f, v0
	s_and_b32 s12, s12, 0x1e0
	v_or_b32_e32 v0, v0, v6
	v_or_b32_e32 v0, s12, v0
	v_readfirstlane_b32 s12, v24
	v_readfirstlane_b32 s13, v30
	s_nop 4
	global_store_dwordx4 v31, v[0:3], s[12:13]
	global_store_dwordx4 v31, v[10:13], s[12:13] offset:16
	global_store_dwordx4 v31, v[14:17], s[12:13] offset:32
	;; [unrolled: 1-line block ×3, first 2 shown]
	s_and_saveexec_b64 s[12:13], s[0:1]
	s_cbranch_execz .LBB7_234
; %bb.227:                              ;   in Loop: Header=BB7_162 Depth=1
	global_load_dwordx2 v[12:13], v26, s[2:3] offset:32 glc
	global_load_dwordx2 v[0:1], v26, s[2:3] offset:40
	v_mov_b32_e32 v10, s10
	v_mov_b32_e32 v11, s11
	s_waitcnt vmcnt(0)
	v_readfirstlane_b32 s14, v0
	v_readfirstlane_b32 s15, v1
	s_and_b64 s[14:15], s[14:15], s[10:11]
	s_mul_i32 s15, s15, 24
	s_mul_hi_u32 s16, s14, 24
	s_mul_i32 s14, s14, 24
	s_add_i32 s15, s16, s15
	v_mov_b32_e32 v0, s15
	v_add_co_u32_e32 v6, vcc, s14, v22
	v_addc_co_u32_e32 v7, vcc, v23, v0, vcc
	global_store_dwordx2 v[6:7], v[12:13], off
	s_waitcnt vmcnt(0)
	global_atomic_cmpswap_x2 v[2:3], v26, v[10:13], s[2:3] offset:32 glc
	s_waitcnt vmcnt(0)
	v_cmp_ne_u64_e32 vcc, v[2:3], v[12:13]
	s_and_saveexec_b64 s[14:15], vcc
	s_cbranch_execz .LBB7_230
; %bb.228:                              ;   in Loop: Header=BB7_162 Depth=1
	s_mov_b64 s[16:17], 0
.LBB7_229:                              ;   Parent Loop BB7_162 Depth=1
                                        ; =>  This Inner Loop Header: Depth=2
	s_sleep 1
	global_store_dwordx2 v[6:7], v[2:3], off
	v_mov_b32_e32 v0, s10
	v_mov_b32_e32 v1, s11
	s_waitcnt vmcnt(0)
	global_atomic_cmpswap_x2 v[0:1], v26, v[0:3], s[2:3] offset:32 glc
	s_waitcnt vmcnt(0)
	v_cmp_eq_u64_e32 vcc, v[0:1], v[2:3]
	v_mov_b32_e32 v3, v1
	s_or_b64 s[16:17], vcc, s[16:17]
	v_mov_b32_e32 v2, v0
	s_andn2_b64 exec, exec, s[16:17]
	s_cbranch_execnz .LBB7_229
.LBB7_230:                              ;   in Loop: Header=BB7_162 Depth=1
	s_or_b64 exec, exec, s[14:15]
	global_load_dwordx2 v[0:1], v26, s[2:3] offset:16
	s_mov_b64 s[16:17], exec
	v_mbcnt_lo_u32_b32 v2, s16, 0
	v_mbcnt_hi_u32_b32 v2, s17, v2
	v_cmp_eq_u32_e32 vcc, 0, v2
	s_and_saveexec_b64 s[14:15], vcc
	s_cbranch_execz .LBB7_232
; %bb.231:                              ;   in Loop: Header=BB7_162 Depth=1
	s_bcnt1_i32_b64 s16, s[16:17]
	v_mov_b32_e32 v25, s16
	s_waitcnt vmcnt(0)
	global_atomic_add_x2 v[0:1], v[25:26], off offset:8
.LBB7_232:                              ;   in Loop: Header=BB7_162 Depth=1
	s_or_b64 exec, exec, s[14:15]
	s_waitcnt vmcnt(0)
	global_load_dwordx2 v[2:3], v[0:1], off offset:16
	s_waitcnt vmcnt(0)
	v_cmp_eq_u64_e32 vcc, 0, v[2:3]
	s_cbranch_vccnz .LBB7_234
; %bb.233:                              ;   in Loop: Header=BB7_162 Depth=1
	global_load_dword v25, v[0:1], off offset:24
	s_waitcnt vmcnt(0)
	v_readfirstlane_b32 s14, v25
	s_and_b32 m0, s14, 0xffffff
	global_store_dwordx2 v[2:3], v[25:26], off
	s_sendmsg sendmsg(MSG_INTERRUPT)
.LBB7_234:                              ;   in Loop: Header=BB7_162 Depth=1
	s_or_b64 exec, exec, s[12:13]
	v_add_co_u32_e32 v0, vcc, v24, v31
	v_addc_co_u32_e32 v1, vcc, 0, v30, vcc
	s_branch .LBB7_238
.LBB7_235:                              ;   in Loop: Header=BB7_238 Depth=2
	s_or_b64 exec, exec, s[12:13]
	v_readfirstlane_b32 s12, v2
	s_cmp_eq_u32 s12, 0
	s_cbranch_scc1 .LBB7_237
; %bb.236:                              ;   in Loop: Header=BB7_238 Depth=2
	s_sleep 1
	s_cbranch_execnz .LBB7_238
	s_branch .LBB7_240
.LBB7_237:                              ;   in Loop: Header=BB7_162 Depth=1
	s_branch .LBB7_240
.LBB7_238:                              ;   Parent Loop BB7_162 Depth=1
                                        ; =>  This Inner Loop Header: Depth=2
	v_mov_b32_e32 v2, 1
	s_and_saveexec_b64 s[12:13], s[0:1]
	s_cbranch_execz .LBB7_235
; %bb.239:                              ;   in Loop: Header=BB7_238 Depth=2
	global_load_dword v2, v[27:28], off offset:20 glc
	s_waitcnt vmcnt(0)
	buffer_wbinvl1_vol
	v_and_b32_e32 v2, 1, v2
	s_branch .LBB7_235
.LBB7_240:                              ;   in Loop: Header=BB7_162 Depth=1
	global_load_dwordx2 v[0:1], v[0:1], off
	s_and_saveexec_b64 s[12:13], s[0:1]
	s_cbranch_execz .LBB7_161
; %bb.241:                              ;   in Loop: Header=BB7_162 Depth=1
	global_load_dwordx2 v[2:3], v26, s[2:3] offset:40
	global_load_dwordx2 v[14:15], v26, s[2:3] offset:24 glc
	global_load_dwordx2 v[6:7], v26, s[2:3]
	s_waitcnt vmcnt(2)
	v_readfirstlane_b32 s14, v2
	v_readfirstlane_b32 s15, v3
	s_add_u32 s16, s14, 1
	s_addc_u32 s17, s15, 0
	s_add_u32 s0, s16, s10
	s_addc_u32 s1, s17, s11
	s_cmp_eq_u64 s[0:1], 0
	s_cselect_b32 s1, s17, s1
	s_cselect_b32 s0, s16, s0
	s_and_b64 s[10:11], s[0:1], s[14:15]
	s_mul_i32 s11, s11, 24
	s_mul_hi_u32 s14, s10, 24
	s_mul_i32 s10, s10, 24
	s_add_i32 s11, s14, s11
	v_mov_b32_e32 v3, s11
	s_waitcnt vmcnt(0)
	v_add_co_u32_e32 v2, vcc, s10, v6
	v_addc_co_u32_e32 v3, vcc, v7, v3, vcc
	v_mov_b32_e32 v12, s0
	global_store_dwordx2 v[2:3], v[14:15], off
	v_mov_b32_e32 v13, s1
	s_waitcnt vmcnt(0)
	global_atomic_cmpswap_x2 v[12:13], v26, v[12:15], s[2:3] offset:24 glc
	s_waitcnt vmcnt(0)
	v_cmp_ne_u64_e32 vcc, v[12:13], v[14:15]
	s_and_b64 exec, exec, vcc
	s_cbranch_execz .LBB7_161
; %bb.242:                              ;   in Loop: Header=BB7_162 Depth=1
	s_mov_b64 s[10:11], 0
.LBB7_243:                              ;   Parent Loop BB7_162 Depth=1
                                        ; =>  This Inner Loop Header: Depth=2
	s_sleep 1
	global_store_dwordx2 v[2:3], v[12:13], off
	v_mov_b32_e32 v10, s0
	v_mov_b32_e32 v11, s1
	s_waitcnt vmcnt(0)
	global_atomic_cmpswap_x2 v[6:7], v26, v[10:13], s[2:3] offset:24 glc
	s_waitcnt vmcnt(0)
	v_cmp_eq_u64_e32 vcc, v[6:7], v[12:13]
	v_mov_b32_e32 v13, v7
	s_or_b64 s[10:11], vcc, s[10:11]
	v_mov_b32_e32 v12, v6
	s_andn2_b64 exec, exec, s[10:11]
	s_cbranch_execnz .LBB7_243
	s_branch .LBB7_161
.LBB7_244:
	s_mov_b64 s[0:1], -1
                                        ; implicit-def: $vgpr0_vgpr1
	s_branch .LBB7_246
.LBB7_245:
	s_mov_b64 s[0:1], 0
.LBB7_246:
	s_and_b64 vcc, exec, s[0:1]
	s_cbranch_vccz .LBB7_273
; %bb.247:
	v_readfirstlane_b32 s0, v32
	v_mov_b32_e32 v7, 0
	v_mov_b32_e32 v8, 0
	v_cmp_eq_u32_e64 s[0:1], s0, v32
	s_and_saveexec_b64 s[4:5], s[0:1]
	s_cbranch_execz .LBB7_253
; %bb.248:
	s_waitcnt vmcnt(0)
	v_mov_b32_e32 v0, 0
	global_load_dwordx2 v[9:10], v0, s[2:3] offset:24 glc
	s_waitcnt vmcnt(0)
	buffer_wbinvl1_vol
	global_load_dwordx2 v[1:2], v0, s[2:3] offset:40
	global_load_dwordx2 v[6:7], v0, s[2:3]
	s_waitcnt vmcnt(1)
	v_and_b32_e32 v1, v1, v9
	v_and_b32_e32 v2, v2, v10
	v_mul_lo_u32 v2, v2, 24
	v_mul_hi_u32 v3, v1, 24
	v_mul_lo_u32 v1, v1, 24
	v_add_u32_e32 v2, v3, v2
	s_waitcnt vmcnt(0)
	v_add_co_u32_e32 v1, vcc, v6, v1
	v_addc_co_u32_e32 v2, vcc, v7, v2, vcc
	global_load_dwordx2 v[7:8], v[1:2], off glc
	s_waitcnt vmcnt(0)
	global_atomic_cmpswap_x2 v[7:8], v0, v[7:10], s[2:3] offset:24 glc
	s_waitcnt vmcnt(0)
	buffer_wbinvl1_vol
	v_cmp_ne_u64_e32 vcc, v[7:8], v[9:10]
	s_and_saveexec_b64 s[6:7], vcc
	s_cbranch_execz .LBB7_252
; %bb.249:
	s_mov_b64 s[8:9], 0
.LBB7_250:                              ; =>This Inner Loop Header: Depth=1
	s_sleep 1
	global_load_dwordx2 v[1:2], v0, s[2:3] offset:40
	global_load_dwordx2 v[11:12], v0, s[2:3]
	v_mov_b32_e32 v10, v8
	v_mov_b32_e32 v9, v7
	s_waitcnt vmcnt(1)
	v_and_b32_e32 v1, v1, v9
	s_waitcnt vmcnt(0)
	v_mad_u64_u32 v[6:7], s[10:11], v1, 24, v[11:12]
	v_and_b32_e32 v2, v2, v10
	v_mov_b32_e32 v1, v7
	v_mad_u64_u32 v[1:2], s[10:11], v2, 24, v[1:2]
	v_mov_b32_e32 v7, v1
	global_load_dwordx2 v[7:8], v[6:7], off glc
	s_waitcnt vmcnt(0)
	global_atomic_cmpswap_x2 v[7:8], v0, v[7:10], s[2:3] offset:24 glc
	s_waitcnt vmcnt(0)
	buffer_wbinvl1_vol
	v_cmp_eq_u64_e32 vcc, v[7:8], v[9:10]
	s_or_b64 s[8:9], vcc, s[8:9]
	s_andn2_b64 exec, exec, s[8:9]
	s_cbranch_execnz .LBB7_250
; %bb.251:
	s_or_b64 exec, exec, s[8:9]
.LBB7_252:
	s_or_b64 exec, exec, s[6:7]
.LBB7_253:
	s_or_b64 exec, exec, s[4:5]
	v_mov_b32_e32 v6, 0
	global_load_dwordx2 v[9:10], v6, s[2:3] offset:40
	global_load_dwordx4 v[0:3], v6, s[2:3]
	v_readfirstlane_b32 s5, v8
	v_readfirstlane_b32 s4, v7
	s_mov_b64 s[6:7], exec
	s_waitcnt vmcnt(1)
	v_readfirstlane_b32 s8, v9
	v_readfirstlane_b32 s9, v10
	s_and_b64 s[8:9], s[8:9], s[4:5]
	s_mul_i32 s10, s9, 24
	s_mul_hi_u32 s11, s8, 24
	s_mul_i32 s12, s8, 24
	s_add_i32 s10, s11, s10
	v_mov_b32_e32 v7, s10
	s_waitcnt vmcnt(0)
	v_add_co_u32_e32 v8, vcc, s12, v0
	v_addc_co_u32_e32 v9, vcc, v1, v7, vcc
	s_and_saveexec_b64 s[10:11], s[0:1]
	s_cbranch_execz .LBB7_255
; %bb.254:
	v_mov_b32_e32 v11, s7
	v_mov_b32_e32 v10, s6
	;; [unrolled: 1-line block ×4, first 2 shown]
	global_store_dwordx4 v[8:9], v[10:13], off offset:8
.LBB7_255:
	s_or_b64 exec, exec, s[10:11]
	s_lshl_b64 s[6:7], s[8:9], 12
	v_mov_b32_e32 v7, s7
	v_add_co_u32_e32 v2, vcc, s6, v2
	v_addc_co_u32_e32 v3, vcc, v3, v7, vcc
	s_movk_i32 s6, 0xff1f
	v_and_or_b32 v4, v4, s6, 32
	v_add_co_u32_e32 v10, vcc, v2, v31
	s_mov_b32 s8, 0
	v_mov_b32_e32 v7, v6
	v_readfirstlane_b32 s6, v2
	v_readfirstlane_b32 s7, v3
	v_addc_co_u32_e32 v11, vcc, 0, v3, vcc
	s_mov_b32 s9, s8
	s_mov_b32 s10, s8
	;; [unrolled: 1-line block ×3, first 2 shown]
	s_nop 0
	global_store_dwordx4 v31, v[4:7], s[6:7]
	v_mov_b32_e32 v2, s8
	v_mov_b32_e32 v3, s9
	;; [unrolled: 1-line block ×4, first 2 shown]
	global_store_dwordx4 v31, v[2:5], s[6:7] offset:16
	global_store_dwordx4 v31, v[2:5], s[6:7] offset:32
	;; [unrolled: 1-line block ×3, first 2 shown]
	s_and_saveexec_b64 s[6:7], s[0:1]
	s_cbranch_execz .LBB7_263
; %bb.256:
	v_mov_b32_e32 v6, 0
	global_load_dwordx2 v[14:15], v6, s[2:3] offset:32 glc
	global_load_dwordx2 v[2:3], v6, s[2:3] offset:40
	v_mov_b32_e32 v12, s4
	v_mov_b32_e32 v13, s5
	s_waitcnt vmcnt(0)
	v_readfirstlane_b32 s8, v2
	v_readfirstlane_b32 s9, v3
	s_and_b64 s[8:9], s[8:9], s[4:5]
	s_mul_i32 s9, s9, 24
	s_mul_hi_u32 s10, s8, 24
	s_mul_i32 s8, s8, 24
	s_add_i32 s9, s10, s9
	v_mov_b32_e32 v2, s9
	v_add_co_u32_e32 v4, vcc, s8, v0
	v_addc_co_u32_e32 v5, vcc, v1, v2, vcc
	global_store_dwordx2 v[4:5], v[14:15], off
	s_waitcnt vmcnt(0)
	global_atomic_cmpswap_x2 v[2:3], v6, v[12:15], s[2:3] offset:32 glc
	s_waitcnt vmcnt(0)
	v_cmp_ne_u64_e32 vcc, v[2:3], v[14:15]
	s_and_saveexec_b64 s[8:9], vcc
	s_cbranch_execz .LBB7_259
; %bb.257:
	s_mov_b64 s[10:11], 0
.LBB7_258:                              ; =>This Inner Loop Header: Depth=1
	s_sleep 1
	global_store_dwordx2 v[4:5], v[2:3], off
	v_mov_b32_e32 v0, s4
	v_mov_b32_e32 v1, s5
	s_waitcnt vmcnt(0)
	global_atomic_cmpswap_x2 v[0:1], v6, v[0:3], s[2:3] offset:32 glc
	s_waitcnt vmcnt(0)
	v_cmp_eq_u64_e32 vcc, v[0:1], v[2:3]
	v_mov_b32_e32 v3, v1
	s_or_b64 s[10:11], vcc, s[10:11]
	v_mov_b32_e32 v2, v0
	s_andn2_b64 exec, exec, s[10:11]
	s_cbranch_execnz .LBB7_258
.LBB7_259:
	s_or_b64 exec, exec, s[8:9]
	v_mov_b32_e32 v3, 0
	global_load_dwordx2 v[0:1], v3, s[2:3] offset:16
	s_mov_b64 s[8:9], exec
	v_mbcnt_lo_u32_b32 v2, s8, 0
	v_mbcnt_hi_u32_b32 v2, s9, v2
	v_cmp_eq_u32_e32 vcc, 0, v2
	s_and_saveexec_b64 s[10:11], vcc
	s_cbranch_execz .LBB7_261
; %bb.260:
	s_bcnt1_i32_b64 s8, s[8:9]
	v_mov_b32_e32 v2, s8
	s_waitcnt vmcnt(0)
	global_atomic_add_x2 v[0:1], v[2:3], off offset:8
.LBB7_261:
	s_or_b64 exec, exec, s[10:11]
	s_waitcnt vmcnt(0)
	global_load_dwordx2 v[2:3], v[0:1], off offset:16
	s_waitcnt vmcnt(0)
	v_cmp_eq_u64_e32 vcc, 0, v[2:3]
	s_cbranch_vccnz .LBB7_263
; %bb.262:
	global_load_dword v0, v[0:1], off offset:24
	v_mov_b32_e32 v1, 0
	s_waitcnt vmcnt(0)
	v_readfirstlane_b32 s8, v0
	s_and_b32 m0, s8, 0xffffff
	global_store_dwordx2 v[2:3], v[0:1], off
	s_sendmsg sendmsg(MSG_INTERRUPT)
.LBB7_263:
	s_or_b64 exec, exec, s[6:7]
	s_branch .LBB7_267
.LBB7_264:                              ;   in Loop: Header=BB7_267 Depth=1
	s_or_b64 exec, exec, s[6:7]
	v_readfirstlane_b32 s6, v0
	s_cmp_eq_u32 s6, 0
	s_cbranch_scc1 .LBB7_266
; %bb.265:                              ;   in Loop: Header=BB7_267 Depth=1
	s_sleep 1
	s_cbranch_execnz .LBB7_267
	s_branch .LBB7_269
.LBB7_266:
	s_branch .LBB7_269
.LBB7_267:                              ; =>This Inner Loop Header: Depth=1
	v_mov_b32_e32 v0, 1
	s_and_saveexec_b64 s[6:7], s[0:1]
	s_cbranch_execz .LBB7_264
; %bb.268:                              ;   in Loop: Header=BB7_267 Depth=1
	global_load_dword v0, v[8:9], off offset:20 glc
	s_waitcnt vmcnt(0)
	buffer_wbinvl1_vol
	v_and_b32_e32 v0, 1, v0
	s_branch .LBB7_264
.LBB7_269:
	global_load_dwordx2 v[0:1], v[10:11], off
	s_and_saveexec_b64 s[6:7], s[0:1]
	s_cbranch_execz .LBB7_272
; %bb.270:
	v_mov_b32_e32 v8, 0
	global_load_dwordx2 v[2:3], v8, s[2:3] offset:40
	global_load_dwordx2 v[11:12], v8, s[2:3] offset:24 glc
	global_load_dwordx2 v[4:5], v8, s[2:3]
	s_waitcnt vmcnt(2)
	v_readfirstlane_b32 s8, v2
	v_readfirstlane_b32 s9, v3
	s_add_u32 s10, s8, 1
	s_addc_u32 s11, s9, 0
	s_add_u32 s0, s10, s4
	s_addc_u32 s1, s11, s5
	s_cmp_eq_u64 s[0:1], 0
	s_cselect_b32 s1, s11, s1
	s_cselect_b32 s0, s10, s0
	s_and_b64 s[4:5], s[0:1], s[8:9]
	s_mul_i32 s5, s5, 24
	s_mul_hi_u32 s8, s4, 24
	s_mul_i32 s4, s4, 24
	s_add_i32 s5, s8, s5
	v_mov_b32_e32 v2, s5
	s_waitcnt vmcnt(0)
	v_add_co_u32_e32 v6, vcc, s4, v4
	v_addc_co_u32_e32 v7, vcc, v5, v2, vcc
	v_mov_b32_e32 v9, s0
	global_store_dwordx2 v[6:7], v[11:12], off
	v_mov_b32_e32 v10, s1
	s_waitcnt vmcnt(0)
	global_atomic_cmpswap_x2 v[4:5], v8, v[9:12], s[2:3] offset:24 glc
	s_mov_b64 s[4:5], 0
	s_waitcnt vmcnt(0)
	v_cmp_ne_u64_e32 vcc, v[4:5], v[11:12]
	s_and_b64 exec, exec, vcc
	s_cbranch_execz .LBB7_272
.LBB7_271:                              ; =>This Inner Loop Header: Depth=1
	s_sleep 1
	global_store_dwordx2 v[6:7], v[4:5], off
	v_mov_b32_e32 v2, s0
	v_mov_b32_e32 v3, s1
	s_waitcnt vmcnt(0)
	global_atomic_cmpswap_x2 v[2:3], v8, v[2:5], s[2:3] offset:24 glc
	s_waitcnt vmcnt(0)
	v_cmp_eq_u64_e32 vcc, v[2:3], v[4:5]
	v_mov_b32_e32 v5, v3
	s_or_b64 s[4:5], vcc, s[4:5]
	v_mov_b32_e32 v4, v2
	s_andn2_b64 exec, exec, s[4:5]
	s_cbranch_execnz .LBB7_271
.LBB7_272:
	s_or_b64 exec, exec, s[6:7]
.LBB7_273:
	s_getpc_b64 s[4:5]
	s_add_u32 s4, s4, __FUNCTION__._ZN9rocsparseL38csr2csr_compress_use_warp_start_deviceILj256ELj32ELj2EfEEvi21rocsparse_index_base_PKT2_PKiS1_PS2_PiPKjS2_@rel32@lo+4
	s_addc_u32 s5, s5, __FUNCTION__._ZN9rocsparseL38csr2csr_compress_use_warp_start_deviceILj256ELj32ELj2EfEEvi21rocsparse_index_base_PKT2_PKiS1_PS2_PiPKjS2_@rel32@hi+12
	s_cmp_lg_u64 s[4:5], 0
	s_cbranch_scc0 .LBB7_358
; %bb.274:
	s_waitcnt vmcnt(0)
	v_and_b32_e32 v29, 2, v0
	v_mov_b32_e32 v26, 0
	v_and_b32_e32 v2, -3, v0
	v_mov_b32_e32 v3, v1
	s_mov_b64 s[6:7], 39
	v_mov_b32_e32 v8, 2
	v_mov_b32_e32 v9, 1
	s_branch .LBB7_276
.LBB7_275:                              ;   in Loop: Header=BB7_276 Depth=1
	s_or_b64 exec, exec, s[12:13]
	s_sub_u32 s6, s6, s8
	s_subb_u32 s7, s7, s9
	s_add_u32 s4, s4, s8
	s_addc_u32 s5, s5, s9
	s_cmp_lg_u64 s[6:7], 0
	s_cbranch_scc0 .LBB7_359
.LBB7_276:                              ; =>This Loop Header: Depth=1
                                        ;     Child Loop BB7_279 Depth 2
                                        ;     Child Loop BB7_287 Depth 2
	;; [unrolled: 1-line block ×11, first 2 shown]
	v_cmp_lt_u64_e64 s[0:1], s[6:7], 56
	v_cmp_gt_u64_e64 s[10:11], s[6:7], 7
	s_and_b64 s[0:1], s[0:1], exec
	s_cselect_b32 s9, s7, 0
	s_cselect_b32 s8, s6, 56
	s_add_u32 s0, s4, 8
	s_addc_u32 s1, s5, 0
	s_and_b64 vcc, exec, s[10:11]
	s_cbranch_vccnz .LBB7_280
; %bb.277:                              ;   in Loop: Header=BB7_276 Depth=1
	s_cmp_eq_u64 s[6:7], 0
	s_cbranch_scc1 .LBB7_281
; %bb.278:                              ;   in Loop: Header=BB7_276 Depth=1
	v_mov_b32_e32 v4, 0
	s_lshl_b64 s[0:1], s[8:9], 3
	s_mov_b64 s[10:11], 0
	v_mov_b32_e32 v5, 0
	s_mov_b64 s[12:13], s[4:5]
.LBB7_279:                              ;   Parent Loop BB7_276 Depth=1
                                        ; =>  This Inner Loop Header: Depth=2
	global_load_ubyte v6, v26, s[12:13]
	s_waitcnt vmcnt(0)
	v_and_b32_e32 v25, 0xffff, v6
	v_lshlrev_b64 v[6:7], s10, v[25:26]
	s_add_u32 s10, s10, 8
	s_addc_u32 s11, s11, 0
	s_add_u32 s12, s12, 1
	s_addc_u32 s13, s13, 0
	v_or_b32_e32 v4, v6, v4
	s_cmp_lg_u32 s0, s10
	v_or_b32_e32 v5, v7, v5
	s_cbranch_scc1 .LBB7_279
	s_branch .LBB7_282
.LBB7_280:                              ;   in Loop: Header=BB7_276 Depth=1
	s_mov_b32 s14, 0
	s_branch .LBB7_283
.LBB7_281:                              ;   in Loop: Header=BB7_276 Depth=1
	v_mov_b32_e32 v4, 0
	v_mov_b32_e32 v5, 0
.LBB7_282:                              ;   in Loop: Header=BB7_276 Depth=1
	s_mov_b64 s[0:1], s[4:5]
	s_mov_b32 s14, 0
	s_cbranch_execnz .LBB7_284
.LBB7_283:                              ;   in Loop: Header=BB7_276 Depth=1
	global_load_dwordx2 v[4:5], v26, s[4:5]
	s_add_i32 s14, s8, -8
.LBB7_284:                              ;   in Loop: Header=BB7_276 Depth=1
	s_add_u32 s10, s0, 8
	s_addc_u32 s11, s1, 0
	s_cmp_gt_u32 s14, 7
	s_cbranch_scc1 .LBB7_288
; %bb.285:                              ;   in Loop: Header=BB7_276 Depth=1
	s_cmp_eq_u32 s14, 0
	s_cbranch_scc1 .LBB7_289
; %bb.286:                              ;   in Loop: Header=BB7_276 Depth=1
	v_mov_b32_e32 v10, 0
	s_mov_b64 s[10:11], 0
	v_mov_b32_e32 v11, 0
	s_mov_b64 s[12:13], 0
.LBB7_287:                              ;   Parent Loop BB7_276 Depth=1
                                        ; =>  This Inner Loop Header: Depth=2
	s_add_u32 s16, s0, s12
	s_addc_u32 s17, s1, s13
	global_load_ubyte v6, v26, s[16:17]
	s_add_u32 s12, s12, 1
	s_addc_u32 s13, s13, 0
	s_waitcnt vmcnt(0)
	v_and_b32_e32 v25, 0xffff, v6
	v_lshlrev_b64 v[6:7], s10, v[25:26]
	s_add_u32 s10, s10, 8
	s_addc_u32 s11, s11, 0
	v_or_b32_e32 v10, v6, v10
	s_cmp_lg_u32 s14, s12
	v_or_b32_e32 v11, v7, v11
	s_cbranch_scc1 .LBB7_287
	s_branch .LBB7_290
.LBB7_288:                              ;   in Loop: Header=BB7_276 Depth=1
                                        ; implicit-def: $vgpr10_vgpr11
	s_mov_b32 s15, 0
	s_branch .LBB7_291
.LBB7_289:                              ;   in Loop: Header=BB7_276 Depth=1
	v_mov_b32_e32 v10, 0
	v_mov_b32_e32 v11, 0
.LBB7_290:                              ;   in Loop: Header=BB7_276 Depth=1
	s_mov_b64 s[10:11], s[0:1]
	s_mov_b32 s15, 0
	s_cbranch_execnz .LBB7_292
.LBB7_291:                              ;   in Loop: Header=BB7_276 Depth=1
	global_load_dwordx2 v[10:11], v26, s[0:1]
	s_add_i32 s15, s14, -8
.LBB7_292:                              ;   in Loop: Header=BB7_276 Depth=1
	s_add_u32 s0, s10, 8
	s_addc_u32 s1, s11, 0
	s_cmp_gt_u32 s15, 7
	s_cbranch_scc1 .LBB7_296
; %bb.293:                              ;   in Loop: Header=BB7_276 Depth=1
	s_cmp_eq_u32 s15, 0
	s_cbranch_scc1 .LBB7_297
; %bb.294:                              ;   in Loop: Header=BB7_276 Depth=1
	v_mov_b32_e32 v12, 0
	s_mov_b64 s[0:1], 0
	v_mov_b32_e32 v13, 0
	s_mov_b64 s[12:13], 0
.LBB7_295:                              ;   Parent Loop BB7_276 Depth=1
                                        ; =>  This Inner Loop Header: Depth=2
	s_add_u32 s16, s10, s12
	s_addc_u32 s17, s11, s13
	global_load_ubyte v6, v26, s[16:17]
	s_add_u32 s12, s12, 1
	s_addc_u32 s13, s13, 0
	s_waitcnt vmcnt(0)
	v_and_b32_e32 v25, 0xffff, v6
	v_lshlrev_b64 v[6:7], s0, v[25:26]
	s_add_u32 s0, s0, 8
	s_addc_u32 s1, s1, 0
	v_or_b32_e32 v12, v6, v12
	s_cmp_lg_u32 s15, s12
	v_or_b32_e32 v13, v7, v13
	s_cbranch_scc1 .LBB7_295
	s_branch .LBB7_298
.LBB7_296:                              ;   in Loop: Header=BB7_276 Depth=1
	s_mov_b32 s14, 0
	s_branch .LBB7_299
.LBB7_297:                              ;   in Loop: Header=BB7_276 Depth=1
	v_mov_b32_e32 v12, 0
	v_mov_b32_e32 v13, 0
.LBB7_298:                              ;   in Loop: Header=BB7_276 Depth=1
	s_mov_b64 s[0:1], s[10:11]
	s_mov_b32 s14, 0
	s_cbranch_execnz .LBB7_300
.LBB7_299:                              ;   in Loop: Header=BB7_276 Depth=1
	global_load_dwordx2 v[12:13], v26, s[10:11]
	s_add_i32 s14, s15, -8
.LBB7_300:                              ;   in Loop: Header=BB7_276 Depth=1
	s_add_u32 s10, s0, 8
	s_addc_u32 s11, s1, 0
	s_cmp_gt_u32 s14, 7
	s_cbranch_scc1 .LBB7_304
; %bb.301:                              ;   in Loop: Header=BB7_276 Depth=1
	s_cmp_eq_u32 s14, 0
	s_cbranch_scc1 .LBB7_305
; %bb.302:                              ;   in Loop: Header=BB7_276 Depth=1
	v_mov_b32_e32 v14, 0
	s_mov_b64 s[10:11], 0
	v_mov_b32_e32 v15, 0
	s_mov_b64 s[12:13], 0
.LBB7_303:                              ;   Parent Loop BB7_276 Depth=1
                                        ; =>  This Inner Loop Header: Depth=2
	s_add_u32 s16, s0, s12
	s_addc_u32 s17, s1, s13
	global_load_ubyte v6, v26, s[16:17]
	s_add_u32 s12, s12, 1
	s_addc_u32 s13, s13, 0
	s_waitcnt vmcnt(0)
	v_and_b32_e32 v25, 0xffff, v6
	v_lshlrev_b64 v[6:7], s10, v[25:26]
	s_add_u32 s10, s10, 8
	s_addc_u32 s11, s11, 0
	v_or_b32_e32 v14, v6, v14
	s_cmp_lg_u32 s14, s12
	v_or_b32_e32 v15, v7, v15
	s_cbranch_scc1 .LBB7_303
	s_branch .LBB7_306
.LBB7_304:                              ;   in Loop: Header=BB7_276 Depth=1
                                        ; implicit-def: $vgpr14_vgpr15
	s_mov_b32 s15, 0
	s_branch .LBB7_307
.LBB7_305:                              ;   in Loop: Header=BB7_276 Depth=1
	v_mov_b32_e32 v14, 0
	v_mov_b32_e32 v15, 0
.LBB7_306:                              ;   in Loop: Header=BB7_276 Depth=1
	s_mov_b64 s[10:11], s[0:1]
	s_mov_b32 s15, 0
	s_cbranch_execnz .LBB7_308
.LBB7_307:                              ;   in Loop: Header=BB7_276 Depth=1
	global_load_dwordx2 v[14:15], v26, s[0:1]
	s_add_i32 s15, s14, -8
.LBB7_308:                              ;   in Loop: Header=BB7_276 Depth=1
	s_add_u32 s0, s10, 8
	s_addc_u32 s1, s11, 0
	s_cmp_gt_u32 s15, 7
	s_cbranch_scc1 .LBB7_312
; %bb.309:                              ;   in Loop: Header=BB7_276 Depth=1
	s_cmp_eq_u32 s15, 0
	s_cbranch_scc1 .LBB7_313
; %bb.310:                              ;   in Loop: Header=BB7_276 Depth=1
	v_mov_b32_e32 v16, 0
	s_mov_b64 s[0:1], 0
	v_mov_b32_e32 v17, 0
	s_mov_b64 s[12:13], 0
.LBB7_311:                              ;   Parent Loop BB7_276 Depth=1
                                        ; =>  This Inner Loop Header: Depth=2
	s_add_u32 s16, s10, s12
	s_addc_u32 s17, s11, s13
	global_load_ubyte v6, v26, s[16:17]
	s_add_u32 s12, s12, 1
	s_addc_u32 s13, s13, 0
	s_waitcnt vmcnt(0)
	v_and_b32_e32 v25, 0xffff, v6
	v_lshlrev_b64 v[6:7], s0, v[25:26]
	s_add_u32 s0, s0, 8
	s_addc_u32 s1, s1, 0
	v_or_b32_e32 v16, v6, v16
	s_cmp_lg_u32 s15, s12
	v_or_b32_e32 v17, v7, v17
	s_cbranch_scc1 .LBB7_311
	s_branch .LBB7_314
.LBB7_312:                              ;   in Loop: Header=BB7_276 Depth=1
	s_mov_b32 s14, 0
	s_branch .LBB7_315
.LBB7_313:                              ;   in Loop: Header=BB7_276 Depth=1
	v_mov_b32_e32 v16, 0
	v_mov_b32_e32 v17, 0
.LBB7_314:                              ;   in Loop: Header=BB7_276 Depth=1
	s_mov_b64 s[0:1], s[10:11]
	s_mov_b32 s14, 0
	s_cbranch_execnz .LBB7_316
.LBB7_315:                              ;   in Loop: Header=BB7_276 Depth=1
	global_load_dwordx2 v[16:17], v26, s[10:11]
	s_add_i32 s14, s15, -8
.LBB7_316:                              ;   in Loop: Header=BB7_276 Depth=1
	s_add_u32 s10, s0, 8
	s_addc_u32 s11, s1, 0
	s_cmp_gt_u32 s14, 7
	s_cbranch_scc1 .LBB7_320
; %bb.317:                              ;   in Loop: Header=BB7_276 Depth=1
	s_cmp_eq_u32 s14, 0
	s_cbranch_scc1 .LBB7_321
; %bb.318:                              ;   in Loop: Header=BB7_276 Depth=1
	v_mov_b32_e32 v18, 0
	s_mov_b64 s[10:11], 0
	v_mov_b32_e32 v19, 0
	s_mov_b64 s[12:13], 0
.LBB7_319:                              ;   Parent Loop BB7_276 Depth=1
                                        ; =>  This Inner Loop Header: Depth=2
	s_add_u32 s16, s0, s12
	s_addc_u32 s17, s1, s13
	global_load_ubyte v6, v26, s[16:17]
	s_add_u32 s12, s12, 1
	s_addc_u32 s13, s13, 0
	s_waitcnt vmcnt(0)
	v_and_b32_e32 v25, 0xffff, v6
	v_lshlrev_b64 v[6:7], s10, v[25:26]
	s_add_u32 s10, s10, 8
	s_addc_u32 s11, s11, 0
	v_or_b32_e32 v18, v6, v18
	s_cmp_lg_u32 s14, s12
	v_or_b32_e32 v19, v7, v19
	s_cbranch_scc1 .LBB7_319
	s_branch .LBB7_322
.LBB7_320:                              ;   in Loop: Header=BB7_276 Depth=1
                                        ; implicit-def: $vgpr18_vgpr19
	s_mov_b32 s15, 0
	s_branch .LBB7_323
.LBB7_321:                              ;   in Loop: Header=BB7_276 Depth=1
	v_mov_b32_e32 v18, 0
	v_mov_b32_e32 v19, 0
.LBB7_322:                              ;   in Loop: Header=BB7_276 Depth=1
	s_mov_b64 s[10:11], s[0:1]
	s_mov_b32 s15, 0
	s_cbranch_execnz .LBB7_324
.LBB7_323:                              ;   in Loop: Header=BB7_276 Depth=1
	global_load_dwordx2 v[18:19], v26, s[0:1]
	s_add_i32 s15, s14, -8
.LBB7_324:                              ;   in Loop: Header=BB7_276 Depth=1
	s_cmp_gt_u32 s15, 7
	s_cbranch_scc1 .LBB7_328
; %bb.325:                              ;   in Loop: Header=BB7_276 Depth=1
	s_cmp_eq_u32 s15, 0
	s_cbranch_scc1 .LBB7_329
; %bb.326:                              ;   in Loop: Header=BB7_276 Depth=1
	v_mov_b32_e32 v20, 0
	s_mov_b64 s[0:1], 0
	v_mov_b32_e32 v21, 0
	s_mov_b64 s[12:13], s[10:11]
.LBB7_327:                              ;   Parent Loop BB7_276 Depth=1
                                        ; =>  This Inner Loop Header: Depth=2
	global_load_ubyte v6, v26, s[12:13]
	s_add_i32 s15, s15, -1
	s_waitcnt vmcnt(0)
	v_and_b32_e32 v25, 0xffff, v6
	v_lshlrev_b64 v[6:7], s0, v[25:26]
	s_add_u32 s0, s0, 8
	s_addc_u32 s1, s1, 0
	s_add_u32 s12, s12, 1
	s_addc_u32 s13, s13, 0
	v_or_b32_e32 v20, v6, v20
	s_cmp_lg_u32 s15, 0
	v_or_b32_e32 v21, v7, v21
	s_cbranch_scc1 .LBB7_327
	s_branch .LBB7_330
.LBB7_328:                              ;   in Loop: Header=BB7_276 Depth=1
	s_branch .LBB7_331
.LBB7_329:                              ;   in Loop: Header=BB7_276 Depth=1
	v_mov_b32_e32 v20, 0
	v_mov_b32_e32 v21, 0
.LBB7_330:                              ;   in Loop: Header=BB7_276 Depth=1
	s_cbranch_execnz .LBB7_332
.LBB7_331:                              ;   in Loop: Header=BB7_276 Depth=1
	global_load_dwordx2 v[20:21], v26, s[10:11]
.LBB7_332:                              ;   in Loop: Header=BB7_276 Depth=1
	v_readfirstlane_b32 s0, v32
	v_mov_b32_e32 v6, 0
	v_mov_b32_e32 v7, 0
	v_cmp_eq_u32_e64 s[0:1], s0, v32
	s_and_saveexec_b64 s[10:11], s[0:1]
	s_cbranch_execz .LBB7_338
; %bb.333:                              ;   in Loop: Header=BB7_276 Depth=1
	global_load_dwordx2 v[24:25], v26, s[2:3] offset:24 glc
	s_waitcnt vmcnt(0)
	buffer_wbinvl1_vol
	global_load_dwordx2 v[6:7], v26, s[2:3] offset:40
	global_load_dwordx2 v[22:23], v26, s[2:3]
	s_waitcnt vmcnt(1)
	v_and_b32_e32 v6, v6, v24
	v_and_b32_e32 v7, v7, v25
	v_mul_lo_u32 v7, v7, 24
	v_mul_hi_u32 v27, v6, 24
	v_mul_lo_u32 v6, v6, 24
	v_add_u32_e32 v7, v27, v7
	s_waitcnt vmcnt(0)
	v_add_co_u32_e32 v6, vcc, v22, v6
	v_addc_co_u32_e32 v7, vcc, v23, v7, vcc
	global_load_dwordx2 v[22:23], v[6:7], off glc
	s_waitcnt vmcnt(0)
	global_atomic_cmpswap_x2 v[6:7], v26, v[22:25], s[2:3] offset:24 glc
	s_waitcnt vmcnt(0)
	buffer_wbinvl1_vol
	v_cmp_ne_u64_e32 vcc, v[6:7], v[24:25]
	s_and_saveexec_b64 s[12:13], vcc
	s_cbranch_execz .LBB7_337
; %bb.334:                              ;   in Loop: Header=BB7_276 Depth=1
	s_mov_b64 s[14:15], 0
.LBB7_335:                              ;   Parent Loop BB7_276 Depth=1
                                        ; =>  This Inner Loop Header: Depth=2
	s_sleep 1
	global_load_dwordx2 v[22:23], v26, s[2:3] offset:40
	global_load_dwordx2 v[27:28], v26, s[2:3]
	v_mov_b32_e32 v25, v7
	v_mov_b32_e32 v24, v6
	s_waitcnt vmcnt(1)
	v_and_b32_e32 v6, v22, v24
	s_waitcnt vmcnt(0)
	v_mad_u64_u32 v[6:7], s[16:17], v6, 24, v[27:28]
	v_and_b32_e32 v22, v23, v25
	v_mad_u64_u32 v[22:23], s[16:17], v22, 24, v[7:8]
	v_mov_b32_e32 v7, v22
	global_load_dwordx2 v[22:23], v[6:7], off glc
	s_waitcnt vmcnt(0)
	global_atomic_cmpswap_x2 v[6:7], v26, v[22:25], s[2:3] offset:24 glc
	s_waitcnt vmcnt(0)
	buffer_wbinvl1_vol
	v_cmp_eq_u64_e32 vcc, v[6:7], v[24:25]
	s_or_b64 s[14:15], vcc, s[14:15]
	s_andn2_b64 exec, exec, s[14:15]
	s_cbranch_execnz .LBB7_335
; %bb.336:                              ;   in Loop: Header=BB7_276 Depth=1
	s_or_b64 exec, exec, s[14:15]
.LBB7_337:                              ;   in Loop: Header=BB7_276 Depth=1
	s_or_b64 exec, exec, s[12:13]
.LBB7_338:                              ;   in Loop: Header=BB7_276 Depth=1
	s_or_b64 exec, exec, s[10:11]
	global_load_dwordx2 v[27:28], v26, s[2:3] offset:40
	global_load_dwordx4 v[22:25], v26, s[2:3]
	v_readfirstlane_b32 s11, v7
	v_readfirstlane_b32 s10, v6
	s_mov_b64 s[12:13], exec
	s_waitcnt vmcnt(1)
	v_readfirstlane_b32 s14, v27
	v_readfirstlane_b32 s15, v28
	s_and_b64 s[14:15], s[14:15], s[10:11]
	s_mul_i32 s16, s15, 24
	s_mul_hi_u32 s17, s14, 24
	s_mul_i32 s18, s14, 24
	s_add_i32 s16, s17, s16
	v_mov_b32_e32 v6, s16
	s_waitcnt vmcnt(0)
	v_add_co_u32_e32 v27, vcc, s18, v22
	v_addc_co_u32_e32 v28, vcc, v23, v6, vcc
	s_and_saveexec_b64 s[16:17], s[0:1]
	s_cbranch_execz .LBB7_340
; %bb.339:                              ;   in Loop: Header=BB7_276 Depth=1
	v_mov_b32_e32 v6, s12
	v_mov_b32_e32 v7, s13
	global_store_dwordx4 v[27:28], v[6:9], off offset:8
.LBB7_340:                              ;   in Loop: Header=BB7_276 Depth=1
	s_or_b64 exec, exec, s[16:17]
	s_lshl_b64 s[12:13], s[14:15], 12
	v_mov_b32_e32 v6, s13
	v_add_co_u32_e32 v24, vcc, s12, v24
	v_addc_co_u32_e32 v30, vcc, v25, v6, vcc
	v_cmp_lt_u64_e64 vcc, s[6:7], 57
	s_lshl_b32 s12, s8, 2
	v_cndmask_b32_e32 v6, 0, v29, vcc
	s_add_i32 s12, s12, 28
	v_and_b32_e32 v2, 0xffffff1f, v2
	s_and_b32 s12, s12, 0x1e0
	v_or_b32_e32 v2, v2, v6
	v_or_b32_e32 v2, s12, v2
	v_readfirstlane_b32 s12, v24
	v_readfirstlane_b32 s13, v30
	s_nop 4
	global_store_dwordx4 v31, v[2:5], s[12:13]
	global_store_dwordx4 v31, v[10:13], s[12:13] offset:16
	global_store_dwordx4 v31, v[14:17], s[12:13] offset:32
	;; [unrolled: 1-line block ×3, first 2 shown]
	s_and_saveexec_b64 s[12:13], s[0:1]
	s_cbranch_execz .LBB7_348
; %bb.341:                              ;   in Loop: Header=BB7_276 Depth=1
	global_load_dwordx2 v[12:13], v26, s[2:3] offset:32 glc
	global_load_dwordx2 v[2:3], v26, s[2:3] offset:40
	v_mov_b32_e32 v10, s10
	v_mov_b32_e32 v11, s11
	s_waitcnt vmcnt(0)
	v_readfirstlane_b32 s14, v2
	v_readfirstlane_b32 s15, v3
	s_and_b64 s[14:15], s[14:15], s[10:11]
	s_mul_i32 s15, s15, 24
	s_mul_hi_u32 s16, s14, 24
	s_mul_i32 s14, s14, 24
	s_add_i32 s15, s16, s15
	v_mov_b32_e32 v2, s15
	v_add_co_u32_e32 v6, vcc, s14, v22
	v_addc_co_u32_e32 v7, vcc, v23, v2, vcc
	global_store_dwordx2 v[6:7], v[12:13], off
	s_waitcnt vmcnt(0)
	global_atomic_cmpswap_x2 v[4:5], v26, v[10:13], s[2:3] offset:32 glc
	s_waitcnt vmcnt(0)
	v_cmp_ne_u64_e32 vcc, v[4:5], v[12:13]
	s_and_saveexec_b64 s[14:15], vcc
	s_cbranch_execz .LBB7_344
; %bb.342:                              ;   in Loop: Header=BB7_276 Depth=1
	s_mov_b64 s[16:17], 0
.LBB7_343:                              ;   Parent Loop BB7_276 Depth=1
                                        ; =>  This Inner Loop Header: Depth=2
	s_sleep 1
	global_store_dwordx2 v[6:7], v[4:5], off
	v_mov_b32_e32 v2, s10
	v_mov_b32_e32 v3, s11
	s_waitcnt vmcnt(0)
	global_atomic_cmpswap_x2 v[2:3], v26, v[2:5], s[2:3] offset:32 glc
	s_waitcnt vmcnt(0)
	v_cmp_eq_u64_e32 vcc, v[2:3], v[4:5]
	v_mov_b32_e32 v5, v3
	s_or_b64 s[16:17], vcc, s[16:17]
	v_mov_b32_e32 v4, v2
	s_andn2_b64 exec, exec, s[16:17]
	s_cbranch_execnz .LBB7_343
.LBB7_344:                              ;   in Loop: Header=BB7_276 Depth=1
	s_or_b64 exec, exec, s[14:15]
	global_load_dwordx2 v[2:3], v26, s[2:3] offset:16
	s_mov_b64 s[16:17], exec
	v_mbcnt_lo_u32_b32 v4, s16, 0
	v_mbcnt_hi_u32_b32 v4, s17, v4
	v_cmp_eq_u32_e32 vcc, 0, v4
	s_and_saveexec_b64 s[14:15], vcc
	s_cbranch_execz .LBB7_346
; %bb.345:                              ;   in Loop: Header=BB7_276 Depth=1
	s_bcnt1_i32_b64 s16, s[16:17]
	v_mov_b32_e32 v25, s16
	s_waitcnt vmcnt(0)
	global_atomic_add_x2 v[2:3], v[25:26], off offset:8
.LBB7_346:                              ;   in Loop: Header=BB7_276 Depth=1
	s_or_b64 exec, exec, s[14:15]
	s_waitcnt vmcnt(0)
	global_load_dwordx2 v[4:5], v[2:3], off offset:16
	s_waitcnt vmcnt(0)
	v_cmp_eq_u64_e32 vcc, 0, v[4:5]
	s_cbranch_vccnz .LBB7_348
; %bb.347:                              ;   in Loop: Header=BB7_276 Depth=1
	global_load_dword v25, v[2:3], off offset:24
	s_waitcnt vmcnt(0)
	v_readfirstlane_b32 s14, v25
	s_and_b32 m0, s14, 0xffffff
	global_store_dwordx2 v[4:5], v[25:26], off
	s_sendmsg sendmsg(MSG_INTERRUPT)
.LBB7_348:                              ;   in Loop: Header=BB7_276 Depth=1
	s_or_b64 exec, exec, s[12:13]
	v_add_co_u32_e32 v2, vcc, v24, v31
	v_addc_co_u32_e32 v3, vcc, 0, v30, vcc
	s_branch .LBB7_352
.LBB7_349:                              ;   in Loop: Header=BB7_352 Depth=2
	s_or_b64 exec, exec, s[12:13]
	v_readfirstlane_b32 s12, v4
	s_cmp_eq_u32 s12, 0
	s_cbranch_scc1 .LBB7_351
; %bb.350:                              ;   in Loop: Header=BB7_352 Depth=2
	s_sleep 1
	s_cbranch_execnz .LBB7_352
	s_branch .LBB7_354
.LBB7_351:                              ;   in Loop: Header=BB7_276 Depth=1
	s_branch .LBB7_354
.LBB7_352:                              ;   Parent Loop BB7_276 Depth=1
                                        ; =>  This Inner Loop Header: Depth=2
	v_mov_b32_e32 v4, 1
	s_and_saveexec_b64 s[12:13], s[0:1]
	s_cbranch_execz .LBB7_349
; %bb.353:                              ;   in Loop: Header=BB7_352 Depth=2
	global_load_dword v4, v[27:28], off offset:20 glc
	s_waitcnt vmcnt(0)
	buffer_wbinvl1_vol
	v_and_b32_e32 v4, 1, v4
	s_branch .LBB7_349
.LBB7_354:                              ;   in Loop: Header=BB7_276 Depth=1
	global_load_dwordx2 v[2:3], v[2:3], off
	s_and_saveexec_b64 s[12:13], s[0:1]
	s_cbranch_execz .LBB7_275
; %bb.355:                              ;   in Loop: Header=BB7_276 Depth=1
	global_load_dwordx2 v[4:5], v26, s[2:3] offset:40
	global_load_dwordx2 v[14:15], v26, s[2:3] offset:24 glc
	global_load_dwordx2 v[6:7], v26, s[2:3]
	s_waitcnt vmcnt(2)
	v_readfirstlane_b32 s14, v4
	v_readfirstlane_b32 s15, v5
	s_add_u32 s16, s14, 1
	s_addc_u32 s17, s15, 0
	s_add_u32 s0, s16, s10
	s_addc_u32 s1, s17, s11
	s_cmp_eq_u64 s[0:1], 0
	s_cselect_b32 s1, s17, s1
	s_cselect_b32 s0, s16, s0
	s_and_b64 s[10:11], s[0:1], s[14:15]
	s_mul_i32 s11, s11, 24
	s_mul_hi_u32 s14, s10, 24
	s_mul_i32 s10, s10, 24
	s_add_i32 s11, s14, s11
	v_mov_b32_e32 v4, s11
	s_waitcnt vmcnt(0)
	v_add_co_u32_e32 v10, vcc, s10, v6
	v_addc_co_u32_e32 v11, vcc, v7, v4, vcc
	v_mov_b32_e32 v12, s0
	global_store_dwordx2 v[10:11], v[14:15], off
	v_mov_b32_e32 v13, s1
	s_waitcnt vmcnt(0)
	global_atomic_cmpswap_x2 v[6:7], v26, v[12:15], s[2:3] offset:24 glc
	s_waitcnt vmcnt(0)
	v_cmp_ne_u64_e32 vcc, v[6:7], v[14:15]
	s_and_b64 exec, exec, vcc
	s_cbranch_execz .LBB7_275
; %bb.356:                              ;   in Loop: Header=BB7_276 Depth=1
	s_mov_b64 s[10:11], 0
.LBB7_357:                              ;   Parent Loop BB7_276 Depth=1
                                        ; =>  This Inner Loop Header: Depth=2
	s_sleep 1
	global_store_dwordx2 v[10:11], v[6:7], off
	v_mov_b32_e32 v4, s0
	v_mov_b32_e32 v5, s1
	s_waitcnt vmcnt(0)
	global_atomic_cmpswap_x2 v[4:5], v26, v[4:7], s[2:3] offset:24 glc
	s_waitcnt vmcnt(0)
	v_cmp_eq_u64_e32 vcc, v[4:5], v[6:7]
	v_mov_b32_e32 v7, v5
	s_or_b64 s[10:11], vcc, s[10:11]
	v_mov_b32_e32 v6, v4
	s_andn2_b64 exec, exec, s[10:11]
	s_cbranch_execnz .LBB7_357
	s_branch .LBB7_275
.LBB7_358:
	s_mov_b64 s[0:1], -1
                                        ; implicit-def: $vgpr2_vgpr3
	s_branch .LBB7_360
.LBB7_359:
	s_mov_b64 s[0:1], 0
.LBB7_360:
	s_and_b64 vcc, exec, s[0:1]
	s_cbranch_vccz .LBB7_387
; %bb.361:
	v_readfirstlane_b32 s0, v32
	v_mov_b32_e32 v8, 0
	v_mov_b32_e32 v9, 0
	v_cmp_eq_u32_e64 s[0:1], s0, v32
	s_and_saveexec_b64 s[4:5], s[0:1]
	s_cbranch_execz .LBB7_367
; %bb.362:
	s_waitcnt vmcnt(0)
	v_mov_b32_e32 v2, 0
	global_load_dwordx2 v[5:6], v2, s[2:3] offset:24 glc
	s_waitcnt vmcnt(0)
	buffer_wbinvl1_vol
	global_load_dwordx2 v[3:4], v2, s[2:3] offset:40
	global_load_dwordx2 v[7:8], v2, s[2:3]
	s_waitcnt vmcnt(1)
	v_and_b32_e32 v3, v3, v5
	v_and_b32_e32 v4, v4, v6
	v_mul_lo_u32 v4, v4, 24
	v_mul_hi_u32 v9, v3, 24
	v_mul_lo_u32 v3, v3, 24
	v_add_u32_e32 v4, v9, v4
	s_waitcnt vmcnt(0)
	v_add_co_u32_e32 v3, vcc, v7, v3
	v_addc_co_u32_e32 v4, vcc, v8, v4, vcc
	global_load_dwordx2 v[3:4], v[3:4], off glc
	s_waitcnt vmcnt(0)
	global_atomic_cmpswap_x2 v[8:9], v2, v[3:6], s[2:3] offset:24 glc
	s_waitcnt vmcnt(0)
	buffer_wbinvl1_vol
	v_cmp_ne_u64_e32 vcc, v[8:9], v[5:6]
	s_and_saveexec_b64 s[6:7], vcc
	s_cbranch_execz .LBB7_366
; %bb.363:
	s_mov_b64 s[8:9], 0
.LBB7_364:                              ; =>This Inner Loop Header: Depth=1
	s_sleep 1
	global_load_dwordx2 v[3:4], v2, s[2:3] offset:40
	global_load_dwordx2 v[10:11], v2, s[2:3]
	v_mov_b32_e32 v5, v8
	v_mov_b32_e32 v6, v9
	s_waitcnt vmcnt(1)
	v_and_b32_e32 v3, v3, v5
	s_waitcnt vmcnt(0)
	v_mad_u64_u32 v[7:8], s[10:11], v3, 24, v[10:11]
	v_and_b32_e32 v4, v4, v6
	v_mov_b32_e32 v3, v8
	v_mad_u64_u32 v[3:4], s[10:11], v4, 24, v[3:4]
	v_mov_b32_e32 v8, v3
	global_load_dwordx2 v[3:4], v[7:8], off glc
	s_waitcnt vmcnt(0)
	global_atomic_cmpswap_x2 v[8:9], v2, v[3:6], s[2:3] offset:24 glc
	s_waitcnt vmcnt(0)
	buffer_wbinvl1_vol
	v_cmp_eq_u64_e32 vcc, v[8:9], v[5:6]
	s_or_b64 s[8:9], vcc, s[8:9]
	s_andn2_b64 exec, exec, s[8:9]
	s_cbranch_execnz .LBB7_364
; %bb.365:
	s_or_b64 exec, exec, s[8:9]
.LBB7_366:
	s_or_b64 exec, exec, s[6:7]
.LBB7_367:
	s_or_b64 exec, exec, s[4:5]
	s_waitcnt vmcnt(0)
	v_mov_b32_e32 v2, 0
	global_load_dwordx2 v[10:11], v2, s[2:3] offset:40
	global_load_dwordx4 v[4:7], v2, s[2:3]
	v_readfirstlane_b32 s5, v9
	v_readfirstlane_b32 s4, v8
	s_mov_b64 s[6:7], exec
	s_waitcnt vmcnt(1)
	v_readfirstlane_b32 s8, v10
	v_readfirstlane_b32 s9, v11
	s_and_b64 s[8:9], s[8:9], s[4:5]
	s_mul_i32 s10, s9, 24
	s_mul_hi_u32 s11, s8, 24
	s_mul_i32 s12, s8, 24
	s_add_i32 s10, s11, s10
	v_mov_b32_e32 v3, s10
	s_waitcnt vmcnt(0)
	v_add_co_u32_e32 v8, vcc, s12, v4
	v_addc_co_u32_e32 v9, vcc, v5, v3, vcc
	s_and_saveexec_b64 s[10:11], s[0:1]
	s_cbranch_execz .LBB7_369
; %bb.368:
	v_mov_b32_e32 v11, s7
	v_mov_b32_e32 v10, s6
	;; [unrolled: 1-line block ×4, first 2 shown]
	global_store_dwordx4 v[8:9], v[10:13], off offset:8
.LBB7_369:
	s_or_b64 exec, exec, s[10:11]
	s_lshl_b64 s[6:7], s[8:9], 12
	v_mov_b32_e32 v3, s7
	v_add_co_u32_e32 v10, vcc, s6, v6
	v_addc_co_u32_e32 v11, vcc, v7, v3, vcc
	s_movk_i32 s6, 0xff1f
	v_and_or_b32 v0, v0, s6, 32
	s_mov_b32 s8, 0
	v_mov_b32_e32 v3, v2
	v_readfirstlane_b32 s6, v10
	v_readfirstlane_b32 s7, v11
	v_add_co_u32_e32 v6, vcc, v10, v31
	s_mov_b32 s9, s8
	s_mov_b32 s10, s8
	;; [unrolled: 1-line block ×3, first 2 shown]
	s_nop 0
	global_store_dwordx4 v31, v[0:3], s[6:7]
	v_addc_co_u32_e32 v7, vcc, 0, v11, vcc
	v_mov_b32_e32 v0, s8
	v_mov_b32_e32 v1, s9
	;; [unrolled: 1-line block ×4, first 2 shown]
	global_store_dwordx4 v31, v[0:3], s[6:7] offset:16
	global_store_dwordx4 v31, v[0:3], s[6:7] offset:32
	;; [unrolled: 1-line block ×3, first 2 shown]
	s_and_saveexec_b64 s[6:7], s[0:1]
	s_cbranch_execz .LBB7_377
; %bb.370:
	v_mov_b32_e32 v10, 0
	global_load_dwordx2 v[13:14], v10, s[2:3] offset:32 glc
	global_load_dwordx2 v[0:1], v10, s[2:3] offset:40
	v_mov_b32_e32 v11, s4
	v_mov_b32_e32 v12, s5
	s_waitcnt vmcnt(0)
	v_readfirstlane_b32 s8, v0
	v_readfirstlane_b32 s9, v1
	s_and_b64 s[8:9], s[8:9], s[4:5]
	s_mul_i32 s9, s9, 24
	s_mul_hi_u32 s10, s8, 24
	s_mul_i32 s8, s8, 24
	s_add_i32 s9, s10, s9
	v_mov_b32_e32 v0, s9
	v_add_co_u32_e32 v4, vcc, s8, v4
	v_addc_co_u32_e32 v5, vcc, v5, v0, vcc
	global_store_dwordx2 v[4:5], v[13:14], off
	s_waitcnt vmcnt(0)
	global_atomic_cmpswap_x2 v[2:3], v10, v[11:14], s[2:3] offset:32 glc
	s_waitcnt vmcnt(0)
	v_cmp_ne_u64_e32 vcc, v[2:3], v[13:14]
	s_and_saveexec_b64 s[8:9], vcc
	s_cbranch_execz .LBB7_373
; %bb.371:
	s_mov_b64 s[10:11], 0
.LBB7_372:                              ; =>This Inner Loop Header: Depth=1
	s_sleep 1
	global_store_dwordx2 v[4:5], v[2:3], off
	v_mov_b32_e32 v0, s4
	v_mov_b32_e32 v1, s5
	s_waitcnt vmcnt(0)
	global_atomic_cmpswap_x2 v[0:1], v10, v[0:3], s[2:3] offset:32 glc
	s_waitcnt vmcnt(0)
	v_cmp_eq_u64_e32 vcc, v[0:1], v[2:3]
	v_mov_b32_e32 v3, v1
	s_or_b64 s[10:11], vcc, s[10:11]
	v_mov_b32_e32 v2, v0
	s_andn2_b64 exec, exec, s[10:11]
	s_cbranch_execnz .LBB7_372
.LBB7_373:
	s_or_b64 exec, exec, s[8:9]
	v_mov_b32_e32 v3, 0
	global_load_dwordx2 v[0:1], v3, s[2:3] offset:16
	s_mov_b64 s[8:9], exec
	v_mbcnt_lo_u32_b32 v2, s8, 0
	v_mbcnt_hi_u32_b32 v2, s9, v2
	v_cmp_eq_u32_e32 vcc, 0, v2
	s_and_saveexec_b64 s[10:11], vcc
	s_cbranch_execz .LBB7_375
; %bb.374:
	s_bcnt1_i32_b64 s8, s[8:9]
	v_mov_b32_e32 v2, s8
	s_waitcnt vmcnt(0)
	global_atomic_add_x2 v[0:1], v[2:3], off offset:8
.LBB7_375:
	s_or_b64 exec, exec, s[10:11]
	s_waitcnt vmcnt(0)
	global_load_dwordx2 v[2:3], v[0:1], off offset:16
	s_waitcnt vmcnt(0)
	v_cmp_eq_u64_e32 vcc, 0, v[2:3]
	s_cbranch_vccnz .LBB7_377
; %bb.376:
	global_load_dword v0, v[0:1], off offset:24
	v_mov_b32_e32 v1, 0
	s_waitcnt vmcnt(0)
	v_readfirstlane_b32 s8, v0
	s_and_b32 m0, s8, 0xffffff
	global_store_dwordx2 v[2:3], v[0:1], off
	s_sendmsg sendmsg(MSG_INTERRUPT)
.LBB7_377:
	s_or_b64 exec, exec, s[6:7]
	s_branch .LBB7_381
.LBB7_378:                              ;   in Loop: Header=BB7_381 Depth=1
	s_or_b64 exec, exec, s[6:7]
	v_readfirstlane_b32 s6, v0
	s_cmp_eq_u32 s6, 0
	s_cbranch_scc1 .LBB7_380
; %bb.379:                              ;   in Loop: Header=BB7_381 Depth=1
	s_sleep 1
	s_cbranch_execnz .LBB7_381
	s_branch .LBB7_383
.LBB7_380:
	s_branch .LBB7_383
.LBB7_381:                              ; =>This Inner Loop Header: Depth=1
	v_mov_b32_e32 v0, 1
	s_and_saveexec_b64 s[6:7], s[0:1]
	s_cbranch_execz .LBB7_378
; %bb.382:                              ;   in Loop: Header=BB7_381 Depth=1
	global_load_dword v0, v[8:9], off offset:20 glc
	s_waitcnt vmcnt(0)
	buffer_wbinvl1_vol
	v_and_b32_e32 v0, 1, v0
	s_branch .LBB7_378
.LBB7_383:
	global_load_dwordx2 v[2:3], v[6:7], off
	s_and_saveexec_b64 s[6:7], s[0:1]
	s_cbranch_execz .LBB7_386
; %bb.384:
	v_mov_b32_e32 v8, 0
	global_load_dwordx2 v[0:1], v8, s[2:3] offset:40
	global_load_dwordx2 v[11:12], v8, s[2:3] offset:24 glc
	global_load_dwordx2 v[4:5], v8, s[2:3]
	s_waitcnt vmcnt(2)
	v_readfirstlane_b32 s8, v0
	v_readfirstlane_b32 s9, v1
	s_add_u32 s10, s8, 1
	s_addc_u32 s11, s9, 0
	s_add_u32 s0, s10, s4
	s_addc_u32 s1, s11, s5
	s_cmp_eq_u64 s[0:1], 0
	s_cselect_b32 s1, s11, s1
	s_cselect_b32 s0, s10, s0
	s_and_b64 s[4:5], s[0:1], s[8:9]
	s_mul_i32 s5, s5, 24
	s_mul_hi_u32 s8, s4, 24
	s_mul_i32 s4, s4, 24
	s_add_i32 s5, s8, s5
	v_mov_b32_e32 v1, s5
	s_waitcnt vmcnt(0)
	v_add_co_u32_e32 v0, vcc, s4, v4
	v_addc_co_u32_e32 v1, vcc, v5, v1, vcc
	v_mov_b32_e32 v9, s0
	global_store_dwordx2 v[0:1], v[11:12], off
	v_mov_b32_e32 v10, s1
	s_waitcnt vmcnt(0)
	global_atomic_cmpswap_x2 v[6:7], v8, v[9:12], s[2:3] offset:24 glc
	s_mov_b64 s[4:5], 0
	s_waitcnt vmcnt(0)
	v_cmp_ne_u64_e32 vcc, v[6:7], v[11:12]
	s_and_b64 exec, exec, vcc
	s_cbranch_execz .LBB7_386
.LBB7_385:                              ; =>This Inner Loop Header: Depth=1
	s_sleep 1
	global_store_dwordx2 v[0:1], v[6:7], off
	v_mov_b32_e32 v4, s0
	v_mov_b32_e32 v5, s1
	s_waitcnt vmcnt(0)
	global_atomic_cmpswap_x2 v[4:5], v8, v[4:7], s[2:3] offset:24 glc
	s_waitcnt vmcnt(0)
	v_cmp_eq_u64_e32 vcc, v[4:5], v[6:7]
	v_mov_b32_e32 v7, v5
	s_or_b64 s[4:5], vcc, s[4:5]
	v_mov_b32_e32 v6, v4
	s_andn2_b64 exec, exec, s[4:5]
	s_cbranch_execnz .LBB7_385
.LBB7_386:
	s_or_b64 exec, exec, s[6:7]
.LBB7_387:
	v_readfirstlane_b32 s0, v32
	s_waitcnt vmcnt(0)
	v_mov_b32_e32 v0, 0
	v_mov_b32_e32 v1, 0
	v_cmp_eq_u32_e64 s[0:1], s0, v32
	s_and_saveexec_b64 s[4:5], s[0:1]
	s_cbranch_execz .LBB7_393
; %bb.388:
	v_mov_b32_e32 v4, 0
	global_load_dwordx2 v[7:8], v4, s[2:3] offset:24 glc
	s_waitcnt vmcnt(0)
	buffer_wbinvl1_vol
	global_load_dwordx2 v[0:1], v4, s[2:3] offset:40
	global_load_dwordx2 v[5:6], v4, s[2:3]
	s_waitcnt vmcnt(1)
	v_and_b32_e32 v0, v0, v7
	v_and_b32_e32 v1, v1, v8
	v_mul_lo_u32 v1, v1, 24
	v_mul_hi_u32 v9, v0, 24
	v_mul_lo_u32 v0, v0, 24
	v_add_u32_e32 v1, v9, v1
	s_waitcnt vmcnt(0)
	v_add_co_u32_e32 v0, vcc, v5, v0
	v_addc_co_u32_e32 v1, vcc, v6, v1, vcc
	global_load_dwordx2 v[5:6], v[0:1], off glc
	s_waitcnt vmcnt(0)
	global_atomic_cmpswap_x2 v[0:1], v4, v[5:8], s[2:3] offset:24 glc
	s_waitcnt vmcnt(0)
	buffer_wbinvl1_vol
	v_cmp_ne_u64_e32 vcc, v[0:1], v[7:8]
	s_and_saveexec_b64 s[6:7], vcc
	s_cbranch_execz .LBB7_392
; %bb.389:
	s_mov_b64 s[8:9], 0
.LBB7_390:                              ; =>This Inner Loop Header: Depth=1
	s_sleep 1
	global_load_dwordx2 v[5:6], v4, s[2:3] offset:40
	global_load_dwordx2 v[9:10], v4, s[2:3]
	v_mov_b32_e32 v8, v1
	v_mov_b32_e32 v7, v0
	s_waitcnt vmcnt(1)
	v_and_b32_e32 v0, v5, v7
	s_waitcnt vmcnt(0)
	v_mad_u64_u32 v[0:1], s[10:11], v0, 24, v[9:10]
	v_and_b32_e32 v5, v6, v8
	v_mad_u64_u32 v[5:6], s[10:11], v5, 24, v[1:2]
	v_mov_b32_e32 v1, v5
	global_load_dwordx2 v[5:6], v[0:1], off glc
	s_waitcnt vmcnt(0)
	global_atomic_cmpswap_x2 v[0:1], v4, v[5:8], s[2:3] offset:24 glc
	s_waitcnt vmcnt(0)
	buffer_wbinvl1_vol
	v_cmp_eq_u64_e32 vcc, v[0:1], v[7:8]
	s_or_b64 s[8:9], vcc, s[8:9]
	s_andn2_b64 exec, exec, s[8:9]
	s_cbranch_execnz .LBB7_390
; %bb.391:
	s_or_b64 exec, exec, s[8:9]
.LBB7_392:
	s_or_b64 exec, exec, s[6:7]
.LBB7_393:
	s_or_b64 exec, exec, s[4:5]
	v_mov_b32_e32 v5, 0
	global_load_dwordx2 v[10:11], v5, s[2:3] offset:40
	global_load_dwordx4 v[6:9], v5, s[2:3]
	v_readfirstlane_b32 s5, v1
	v_readfirstlane_b32 s4, v0
	s_mov_b64 s[6:7], exec
	s_waitcnt vmcnt(1)
	v_readfirstlane_b32 s8, v10
	v_readfirstlane_b32 s9, v11
	s_and_b64 s[8:9], s[8:9], s[4:5]
	s_mul_i32 s10, s9, 24
	s_mul_hi_u32 s11, s8, 24
	s_mul_i32 s12, s8, 24
	s_add_i32 s10, s11, s10
	v_mov_b32_e32 v0, s10
	s_waitcnt vmcnt(0)
	v_add_co_u32_e32 v10, vcc, s12, v6
	v_addc_co_u32_e32 v11, vcc, v7, v0, vcc
	s_and_saveexec_b64 s[10:11], s[0:1]
	s_cbranch_execz .LBB7_395
; %bb.394:
	v_mov_b32_e32 v13, s7
	v_mov_b32_e32 v12, s6
	;; [unrolled: 1-line block ×4, first 2 shown]
	global_store_dwordx4 v[10:11], v[12:15], off offset:8
.LBB7_395:
	s_or_b64 exec, exec, s[10:11]
	s_lshl_b64 s[6:7], s[8:9], 12
	v_mov_b32_e32 v0, s7
	v_add_co_u32_e32 v1, vcc, s6, v8
	v_addc_co_u32_e32 v0, vcc, v9, v0, vcc
	s_movk_i32 s6, 0xff1d
	v_and_or_b32 v2, v2, s6, 34
	s_mov_b32 s8, 0
	v_mov_b32_e32 v4, 0x7c
	v_readfirstlane_b32 s6, v1
	v_readfirstlane_b32 s7, v0
	s_mov_b32 s9, s8
	s_mov_b32 s10, s8
	s_mov_b32 s11, s8
	s_nop 1
	global_store_dwordx4 v31, v[2:5], s[6:7]
	v_mov_b32_e32 v0, s8
	v_mov_b32_e32 v1, s9
	;; [unrolled: 1-line block ×4, first 2 shown]
	global_store_dwordx4 v31, v[0:3], s[6:7] offset:16
	global_store_dwordx4 v31, v[0:3], s[6:7] offset:32
	;; [unrolled: 1-line block ×3, first 2 shown]
	s_and_saveexec_b64 s[6:7], s[0:1]
	s_cbranch_execz .LBB7_403
; %bb.396:
	v_mov_b32_e32 v8, 0
	global_load_dwordx2 v[14:15], v8, s[2:3] offset:32 glc
	global_load_dwordx2 v[0:1], v8, s[2:3] offset:40
	v_mov_b32_e32 v12, s4
	v_mov_b32_e32 v13, s5
	s_waitcnt vmcnt(0)
	v_readfirstlane_b32 s8, v0
	v_readfirstlane_b32 s9, v1
	s_and_b64 s[8:9], s[8:9], s[4:5]
	s_mul_i32 s9, s9, 24
	s_mul_hi_u32 s10, s8, 24
	s_mul_i32 s8, s8, 24
	s_add_i32 s9, s10, s9
	v_mov_b32_e32 v0, s9
	v_add_co_u32_e32 v4, vcc, s8, v6
	v_addc_co_u32_e32 v5, vcc, v7, v0, vcc
	global_store_dwordx2 v[4:5], v[14:15], off
	s_waitcnt vmcnt(0)
	global_atomic_cmpswap_x2 v[2:3], v8, v[12:15], s[2:3] offset:32 glc
	s_waitcnt vmcnt(0)
	v_cmp_ne_u64_e32 vcc, v[2:3], v[14:15]
	s_and_saveexec_b64 s[8:9], vcc
	s_cbranch_execz .LBB7_399
; %bb.397:
	s_mov_b64 s[10:11], 0
.LBB7_398:                              ; =>This Inner Loop Header: Depth=1
	s_sleep 1
	global_store_dwordx2 v[4:5], v[2:3], off
	v_mov_b32_e32 v0, s4
	v_mov_b32_e32 v1, s5
	s_waitcnt vmcnt(0)
	global_atomic_cmpswap_x2 v[0:1], v8, v[0:3], s[2:3] offset:32 glc
	s_waitcnt vmcnt(0)
	v_cmp_eq_u64_e32 vcc, v[0:1], v[2:3]
	v_mov_b32_e32 v3, v1
	s_or_b64 s[10:11], vcc, s[10:11]
	v_mov_b32_e32 v2, v0
	s_andn2_b64 exec, exec, s[10:11]
	s_cbranch_execnz .LBB7_398
.LBB7_399:
	s_or_b64 exec, exec, s[8:9]
	v_mov_b32_e32 v3, 0
	global_load_dwordx2 v[0:1], v3, s[2:3] offset:16
	s_mov_b64 s[8:9], exec
	v_mbcnt_lo_u32_b32 v2, s8, 0
	v_mbcnt_hi_u32_b32 v2, s9, v2
	v_cmp_eq_u32_e32 vcc, 0, v2
	s_and_saveexec_b64 s[10:11], vcc
	s_cbranch_execz .LBB7_401
; %bb.400:
	s_bcnt1_i32_b64 s8, s[8:9]
	v_mov_b32_e32 v2, s8
	s_waitcnt vmcnt(0)
	global_atomic_add_x2 v[0:1], v[2:3], off offset:8
.LBB7_401:
	s_or_b64 exec, exec, s[10:11]
	s_waitcnt vmcnt(0)
	global_load_dwordx2 v[2:3], v[0:1], off offset:16
	s_waitcnt vmcnt(0)
	v_cmp_eq_u64_e32 vcc, 0, v[2:3]
	s_cbranch_vccnz .LBB7_403
; %bb.402:
	global_load_dword v0, v[0:1], off offset:24
	v_mov_b32_e32 v1, 0
	s_waitcnt vmcnt(0)
	v_readfirstlane_b32 s8, v0
	s_and_b32 m0, s8, 0xffffff
	global_store_dwordx2 v[2:3], v[0:1], off
	s_sendmsg sendmsg(MSG_INTERRUPT)
.LBB7_403:
	s_or_b64 exec, exec, s[6:7]
	s_branch .LBB7_407
.LBB7_404:                              ;   in Loop: Header=BB7_407 Depth=1
	s_or_b64 exec, exec, s[6:7]
	v_readfirstlane_b32 s6, v0
	s_cmp_eq_u32 s6, 0
	s_cbranch_scc1 .LBB7_406
; %bb.405:                              ;   in Loop: Header=BB7_407 Depth=1
	s_sleep 1
	s_cbranch_execnz .LBB7_407
	s_branch .LBB7_409
.LBB7_406:
	s_branch .LBB7_409
.LBB7_407:                              ; =>This Inner Loop Header: Depth=1
	v_mov_b32_e32 v0, 1
	s_and_saveexec_b64 s[6:7], s[0:1]
	s_cbranch_execz .LBB7_404
; %bb.408:                              ;   in Loop: Header=BB7_407 Depth=1
	global_load_dword v0, v[10:11], off offset:20 glc
	s_waitcnt vmcnt(0)
	buffer_wbinvl1_vol
	v_and_b32_e32 v0, 1, v0
	s_branch .LBB7_404
.LBB7_409:
	s_and_saveexec_b64 s[6:7], s[0:1]
	s_cbranch_execz .LBB7_412
; %bb.410:
	v_mov_b32_e32 v6, 0
	global_load_dwordx2 v[0:1], v6, s[2:3] offset:40
	global_load_dwordx2 v[9:10], v6, s[2:3] offset:24 glc
	global_load_dwordx2 v[2:3], v6, s[2:3]
	s_waitcnt vmcnt(2)
	v_readfirstlane_b32 s8, v0
	v_readfirstlane_b32 s9, v1
	s_add_u32 s10, s8, 1
	s_addc_u32 s11, s9, 0
	s_add_u32 s0, s10, s4
	s_addc_u32 s1, s11, s5
	s_cmp_eq_u64 s[0:1], 0
	s_cselect_b32 s1, s11, s1
	s_cselect_b32 s0, s10, s0
	s_and_b64 s[4:5], s[0:1], s[8:9]
	s_mul_i32 s5, s5, 24
	s_mul_hi_u32 s8, s4, 24
	s_mul_i32 s4, s4, 24
	s_add_i32 s5, s8, s5
	v_mov_b32_e32 v0, s5
	s_waitcnt vmcnt(0)
	v_add_co_u32_e32 v4, vcc, s4, v2
	v_addc_co_u32_e32 v5, vcc, v3, v0, vcc
	v_mov_b32_e32 v7, s0
	global_store_dwordx2 v[4:5], v[9:10], off
	v_mov_b32_e32 v8, s1
	s_waitcnt vmcnt(0)
	global_atomic_cmpswap_x2 v[2:3], v6, v[7:10], s[2:3] offset:24 glc
	s_mov_b64 s[4:5], 0
	s_waitcnt vmcnt(0)
	v_cmp_ne_u64_e32 vcc, v[2:3], v[9:10]
	s_and_b64 exec, exec, vcc
	s_cbranch_execz .LBB7_412
.LBB7_411:                              ; =>This Inner Loop Header: Depth=1
	s_sleep 1
	global_store_dwordx2 v[4:5], v[2:3], off
	v_mov_b32_e32 v0, s0
	v_mov_b32_e32 v1, s1
	s_waitcnt vmcnt(0)
	global_atomic_cmpswap_x2 v[0:1], v6, v[0:3], s[2:3] offset:24 glc
	s_waitcnt vmcnt(0)
	v_cmp_eq_u64_e32 vcc, v[0:1], v[2:3]
	v_mov_b32_e32 v3, v1
	s_or_b64 s[4:5], vcc, s[4:5]
	v_mov_b32_e32 v2, v0
	s_andn2_b64 exec, exec, s[4:5]
	s_cbranch_execnz .LBB7_411
.LBB7_412:
	s_or_b64 exec, exec, s[6:7]
	s_trap 2
	; divergent unreachable
	s_endpgm
	.section	.rodata,"a",@progbits
	.p2align	6, 0x0
	.amdhsa_kernel _ZN9rocsparseL38csr2csr_compress_use_warp_start_deviceILj256ELj32ELj2EdEEvi21rocsparse_index_base_PKT2_PKiS1_PS2_PiPKjS2_
		.amdhsa_group_segment_fixed_size 0
		.amdhsa_private_segment_fixed_size 0
		.amdhsa_kernarg_size 320
		.amdhsa_user_sgpr_count 6
		.amdhsa_user_sgpr_private_segment_buffer 1
		.amdhsa_user_sgpr_dispatch_ptr 0
		.amdhsa_user_sgpr_queue_ptr 0
		.amdhsa_user_sgpr_kernarg_segment_ptr 1
		.amdhsa_user_sgpr_dispatch_id 0
		.amdhsa_user_sgpr_flat_scratch_init 0
		.amdhsa_user_sgpr_private_segment_size 0
		.amdhsa_uses_dynamic_stack 0
		.amdhsa_system_sgpr_private_segment_wavefront_offset 0
		.amdhsa_system_sgpr_workgroup_id_x 1
		.amdhsa_system_sgpr_workgroup_id_y 0
		.amdhsa_system_sgpr_workgroup_id_z 0
		.amdhsa_system_sgpr_workgroup_info 0
		.amdhsa_system_vgpr_workitem_id 0
		.amdhsa_next_free_vgpr 34
		.amdhsa_next_free_sgpr 29
		.amdhsa_reserve_vcc 1
		.amdhsa_reserve_flat_scratch 0
		.amdhsa_float_round_mode_32 0
		.amdhsa_float_round_mode_16_64 0
		.amdhsa_float_denorm_mode_32 3
		.amdhsa_float_denorm_mode_16_64 3
		.amdhsa_dx10_clamp 1
		.amdhsa_ieee_mode 1
		.amdhsa_fp16_overflow 0
		.amdhsa_exception_fp_ieee_invalid_op 0
		.amdhsa_exception_fp_denorm_src 0
		.amdhsa_exception_fp_ieee_div_zero 0
		.amdhsa_exception_fp_ieee_overflow 0
		.amdhsa_exception_fp_ieee_underflow 0
		.amdhsa_exception_fp_ieee_inexact 0
		.amdhsa_exception_int_div_zero 0
	.end_amdhsa_kernel
	.section	.text._ZN9rocsparseL38csr2csr_compress_use_warp_start_deviceILj256ELj32ELj2EdEEvi21rocsparse_index_base_PKT2_PKiS1_PS2_PiPKjS2_,"axG",@progbits,_ZN9rocsparseL38csr2csr_compress_use_warp_start_deviceILj256ELj32ELj2EdEEvi21rocsparse_index_base_PKT2_PKiS1_PS2_PiPKjS2_,comdat
.Lfunc_end7:
	.size	_ZN9rocsparseL38csr2csr_compress_use_warp_start_deviceILj256ELj32ELj2EdEEvi21rocsparse_index_base_PKT2_PKiS1_PS2_PiPKjS2_, .Lfunc_end7-_ZN9rocsparseL38csr2csr_compress_use_warp_start_deviceILj256ELj32ELj2EdEEvi21rocsparse_index_base_PKT2_PKiS1_PS2_PiPKjS2_
                                        ; -- End function
	.set _ZN9rocsparseL38csr2csr_compress_use_warp_start_deviceILj256ELj32ELj2EdEEvi21rocsparse_index_base_PKT2_PKiS1_PS2_PiPKjS2_.num_vgpr, 34
	.set _ZN9rocsparseL38csr2csr_compress_use_warp_start_deviceILj256ELj32ELj2EdEEvi21rocsparse_index_base_PKT2_PKiS1_PS2_PiPKjS2_.num_agpr, 0
	.set _ZN9rocsparseL38csr2csr_compress_use_warp_start_deviceILj256ELj32ELj2EdEEvi21rocsparse_index_base_PKT2_PKiS1_PS2_PiPKjS2_.numbered_sgpr, 29
	.set _ZN9rocsparseL38csr2csr_compress_use_warp_start_deviceILj256ELj32ELj2EdEEvi21rocsparse_index_base_PKT2_PKiS1_PS2_PiPKjS2_.num_named_barrier, 0
	.set _ZN9rocsparseL38csr2csr_compress_use_warp_start_deviceILj256ELj32ELj2EdEEvi21rocsparse_index_base_PKT2_PKiS1_PS2_PiPKjS2_.private_seg_size, 0
	.set _ZN9rocsparseL38csr2csr_compress_use_warp_start_deviceILj256ELj32ELj2EdEEvi21rocsparse_index_base_PKT2_PKiS1_PS2_PiPKjS2_.uses_vcc, 1
	.set _ZN9rocsparseL38csr2csr_compress_use_warp_start_deviceILj256ELj32ELj2EdEEvi21rocsparse_index_base_PKT2_PKiS1_PS2_PiPKjS2_.uses_flat_scratch, 0
	.set _ZN9rocsparseL38csr2csr_compress_use_warp_start_deviceILj256ELj32ELj2EdEEvi21rocsparse_index_base_PKT2_PKiS1_PS2_PiPKjS2_.has_dyn_sized_stack, 0
	.set _ZN9rocsparseL38csr2csr_compress_use_warp_start_deviceILj256ELj32ELj2EdEEvi21rocsparse_index_base_PKT2_PKiS1_PS2_PiPKjS2_.has_recursion, 0
	.set _ZN9rocsparseL38csr2csr_compress_use_warp_start_deviceILj256ELj32ELj2EdEEvi21rocsparse_index_base_PKT2_PKiS1_PS2_PiPKjS2_.has_indirect_call, 0
	.section	.AMDGPU.csdata,"",@progbits
; Kernel info:
; codeLenInByte = 13716
; TotalNumSgprs: 33
; NumVgprs: 34
; ScratchSize: 0
; MemoryBound: 0
; FloatMode: 240
; IeeeMode: 1
; LDSByteSize: 0 bytes/workgroup (compile time only)
; SGPRBlocks: 4
; VGPRBlocks: 8
; NumSGPRsForWavesPerEU: 33
; NumVGPRsForWavesPerEU: 34
; Occupancy: 7
; WaveLimiterHint : 1
; COMPUTE_PGM_RSRC2:SCRATCH_EN: 0
; COMPUTE_PGM_RSRC2:USER_SGPR: 6
; COMPUTE_PGM_RSRC2:TRAP_HANDLER: 0
; COMPUTE_PGM_RSRC2:TGID_X_EN: 1
; COMPUTE_PGM_RSRC2:TGID_Y_EN: 0
; COMPUTE_PGM_RSRC2:TGID_Z_EN: 0
; COMPUTE_PGM_RSRC2:TIDIG_COMP_CNT: 0
	.section	.text._ZN9rocsparseL38csr2csr_compress_use_warp_start_deviceILj256ELj64ELj2EdEEvi21rocsparse_index_base_PKT2_PKiS1_PS2_PiPKjS2_,"axG",@progbits,_ZN9rocsparseL38csr2csr_compress_use_warp_start_deviceILj256ELj64ELj2EdEEvi21rocsparse_index_base_PKT2_PKiS1_PS2_PiPKjS2_,comdat
	.globl	_ZN9rocsparseL38csr2csr_compress_use_warp_start_deviceILj256ELj64ELj2EdEEvi21rocsparse_index_base_PKT2_PKiS1_PS2_PiPKjS2_ ; -- Begin function _ZN9rocsparseL38csr2csr_compress_use_warp_start_deviceILj256ELj64ELj2EdEEvi21rocsparse_index_base_PKT2_PKiS1_PS2_PiPKjS2_
	.p2align	8
	.type	_ZN9rocsparseL38csr2csr_compress_use_warp_start_deviceILj256ELj64ELj2EdEEvi21rocsparse_index_base_PKT2_PKiS1_PS2_PiPKjS2_,@function
_ZN9rocsparseL38csr2csr_compress_use_warp_start_deviceILj256ELj64ELj2EdEEvi21rocsparse_index_base_PKT2_PKiS1_PS2_PiPKjS2_: ; @_ZN9rocsparseL38csr2csr_compress_use_warp_start_deviceILj256ELj64ELj2EdEEvi21rocsparse_index_base_PKT2_PKiS1_PS2_PiPKjS2_
; %bb.0:
	s_load_dwordx4 s[16:19], s[4:5], 0x0
	s_load_dwordx2 s[20:21], s[4:5], 0x10
	s_load_dword s0, s[4:5], 0x18
	s_load_dwordx8 s[8:15], s[4:5], 0x20
	v_not_b32_e32 v2, v0
	v_lshl_or_b32 v1, s6, 9, v0
	v_lshrrev_b32_e32 v0, 6, v0
	v_lshrrev_b64 v[5:6], v2, -1
	s_mov_b64 s[22:23], -1
	v_lshl_or_b32 v3, s6, 3, v0
	s_waitcnt lgkmcnt(0)
	s_sub_i32 s28, s0, s17
	v_cmp_le_i32_e32 vcc, s16, v1
	v_cmp_gt_i32_e64 s[0:1], s16, v1
	s_mov_b64 s[2:3], 0
	s_and_saveexec_b64 s[6:7], s[0:1]
	s_cbranch_execnz .LBB8_4
; %bb.1:
	s_or_b64 exec, exec, s[6:7]
	s_and_saveexec_b64 s[6:7], vcc
	s_cbranch_execnz .LBB8_9
.LBB8_2:
	s_or_b64 exec, exec, s[6:7]
	s_and_saveexec_b64 s[0:1], s[2:3]
	s_xor_b64 s[0:1], exec, s[0:1]
	s_cbranch_execnz .LBB8_16
.LBB8_3:
	s_endpgm
.LBB8_4:
	v_ashrrev_i32_e32 v2, 31, v1
	v_lshlrev_b64 v[7:8], 3, v[1:2]
	v_mov_b32_e32 v0, s19
	v_add_co_u32_e64 v7, s[0:1], s18, v7
	v_addc_co_u32_e64 v8, s[0:1], v0, v8, s[0:1]
	global_load_dwordx2 v[7:8], v[7:8], off glc slc
	s_mov_b32 s2, 0
	s_mov_b32 s3, 0x38100000
	s_mov_b64 s[24:25], 0
	s_waitcnt vmcnt(0)
	v_cmp_gt_f64_e64 s[0:1], 0, v[7:8]
	v_xor_b32_e32 v0, 0x80000000, v8
	v_mov_b32_e32 v9, v7
	v_cndmask_b32_e64 v10, v8, v0, s[0:1]
	v_cmp_lt_f64_e64 s[0:1], s[14:15], v[9:10]
	v_cmp_lt_f64_e64 s[2:3], s[2:3], v[9:10]
	s_and_b64 s[26:27], s[0:1], s[2:3]
	v_cndmask_b32_e64 v0, 0, 1, s[26:27]
	v_cmp_ne_u32_e64 s[0:1], 0, v0
	s_and_saveexec_b64 s[2:3], s[26:27]
	s_cbranch_execz .LBB8_8
; %bb.5:
	v_and_b32_e32 v10, s1, v6
	v_and_b32_e32 v9, s0, v5
	v_cmp_ne_u64_e64 s[0:1], 0, v[9:10]
	s_mov_b64 s[22:23], 0
	s_mov_b64 s[26:27], -1
	s_and_saveexec_b64 s[24:25], s[0:1]
	s_cbranch_execz .LBB8_7
; %bb.6:
	v_mov_b32_e32 v4, 0
	v_lshlrev_b64 v[11:12], 2, v[3:4]
	v_mov_b32_e32 v0, s13
	v_add_co_u32_e64 v11, s[0:1], s12, v11
	v_lshlrev_b64 v[13:14], 2, v[1:2]
	v_addc_co_u32_e64 v12, s[0:1], v0, v12, s[0:1]
	v_mov_b32_e32 v0, s21
	v_add_co_u32_e64 v13, s[0:1], s20, v13
	v_addc_co_u32_e64 v14, s[0:1], v0, v14, s[0:1]
	global_load_dword v0, v[13:14], off
	global_load_dword v2, v[11:12], off
	v_bcnt_u32_b32 v9, v9, 0
	v_bcnt_u32_b32 v9, v10, v9
	v_mov_b32_e32 v10, v4
	v_mov_b32_e32 v13, s9
	s_mov_b64 s[22:23], exec
	v_mov_b32_e32 v14, s11
	s_xor_b64 s[26:27], exec, -1
	s_waitcnt vmcnt(1)
	v_add_u32_e32 v0, s28, v0
	s_waitcnt vmcnt(0)
	v_add3_u32 v9, v9, v2, -1
	v_lshlrev_b64 v[11:12], 3, v[9:10]
	v_lshlrev_b64 v[9:10], 2, v[9:10]
	v_add_co_u32_e64 v11, s[0:1], s8, v11
	v_addc_co_u32_e64 v12, s[0:1], v13, v12, s[0:1]
	v_add_co_u32_e64 v9, s[0:1], s10, v9
	v_addc_co_u32_e64 v10, s[0:1], v14, v10, s[0:1]
	global_store_dwordx2 v[11:12], v[7:8], off
	global_store_dword v[9:10], v0, off
.LBB8_7:
	s_or_b64 exec, exec, s[24:25]
	s_and_b64 s[24:25], s[26:27], exec
	s_orn2_b64 s[22:23], s[22:23], exec
.LBB8_8:
	s_or_b64 exec, exec, s[2:3]
	s_andn2_b64 s[0:1], vcc, exec
	s_and_b64 s[22:23], s[22:23], exec
	s_and_b64 s[2:3], s[24:25], exec
	s_or_b64 vcc, s[0:1], s[22:23]
	s_or_b64 exec, exec, s[6:7]
	s_and_saveexec_b64 s[6:7], vcc
	s_cbranch_execz .LBB8_2
.LBB8_9:
	v_add_u32_e32 v0, 0x100, v1
	v_cmp_gt_i32_e32 vcc, s16, v0
	s_mov_b64 s[0:1], s[2:3]
	s_and_saveexec_b64 s[16:17], vcc
	s_cbranch_execz .LBB8_15
; %bb.10:
	v_ashrrev_i32_e32 v2, 31, v1
	v_lshlrev_b64 v[7:8], 3, v[1:2]
	v_mov_b32_e32 v0, s19
	v_add_co_u32_e32 v7, vcc, s18, v7
	v_addc_co_u32_e32 v8, vcc, v0, v8, vcc
	global_load_dwordx2 v[7:8], v[7:8], off offset:2048 glc slc
	s_mov_b32 s0, 0
	s_mov_b32 s1, 0x38100000
	s_waitcnt vmcnt(0)
	v_cmp_gt_f64_e32 vcc, 0, v[7:8]
	v_xor_b32_e32 v0, 0x80000000, v8
	v_mov_b32_e32 v9, v7
	v_cndmask_b32_e32 v10, v8, v0, vcc
	v_cmp_lt_f64_e32 vcc, s[14:15], v[9:10]
	v_cmp_lt_f64_e64 s[0:1], s[0:1], v[9:10]
	s_mov_b64 s[14:15], s[2:3]
	s_and_b64 s[18:19], vcc, s[0:1]
	v_cndmask_b32_e64 v0, 0, 1, s[18:19]
	v_cmp_ne_u32_e32 vcc, 0, v0
	s_and_saveexec_b64 s[0:1], s[18:19]
	s_cbranch_execz .LBB8_14
; %bb.11:
	v_and_b32_e32 v6, vcc_hi, v6
	v_and_b32_e32 v5, vcc_lo, v5
	v_cmp_ne_u64_e32 vcc, 0, v[5:6]
	s_mov_b64 s[18:19], -1
	s_and_saveexec_b64 s[14:15], vcc
	s_xor_b64 s[14:15], exec, s[14:15]
	s_cbranch_execz .LBB8_13
; %bb.12:
	v_mov_b32_e32 v4, 0
	v_add_u32_e32 v3, 4, v3
	v_lshlrev_b64 v[9:10], 2, v[3:4]
	v_mov_b32_e32 v0, s13
	v_add_co_u32_e32 v9, vcc, s12, v9
	v_addc_co_u32_e32 v10, vcc, v0, v10, vcc
	v_lshlrev_b64 v[0:1], 2, v[1:2]
	v_mov_b32_e32 v2, s21
	v_add_co_u32_e32 v0, vcc, s20, v0
	v_addc_co_u32_e32 v1, vcc, v2, v1, vcc
	global_load_dword v2, v[0:1], off offset:1024
	global_load_dword v3, v[9:10], off
	v_bcnt_u32_b32 v0, v5, 0
	v_bcnt_u32_b32 v0, v6, v0
	v_mov_b32_e32 v5, s9
	v_mov_b32_e32 v9, s11
	s_xor_b64 s[18:19], exec, -1
	s_waitcnt vmcnt(1)
	v_add_u32_e32 v6, s28, v2
	s_waitcnt vmcnt(0)
	v_add3_u32 v3, v0, v3, -1
	v_lshlrev_b64 v[0:1], 3, v[3:4]
	v_lshlrev_b64 v[2:3], 2, v[3:4]
	v_add_co_u32_e32 v0, vcc, s8, v0
	v_addc_co_u32_e32 v1, vcc, v5, v1, vcc
	v_add_co_u32_e32 v2, vcc, s10, v2
	v_addc_co_u32_e32 v3, vcc, v9, v3, vcc
	global_store_dwordx2 v[0:1], v[7:8], off
	global_store_dword v[2:3], v6, off
.LBB8_13:
	s_or_b64 exec, exec, s[14:15]
	s_andn2_b64 s[8:9], s[2:3], exec
	s_and_b64 s[10:11], s[18:19], exec
	s_or_b64 s[14:15], s[8:9], s[10:11]
.LBB8_14:
	s_or_b64 exec, exec, s[0:1]
	s_andn2_b64 s[0:1], s[2:3], exec
	s_and_b64 s[8:9], s[14:15], exec
	s_or_b64 s[0:1], s[0:1], s[8:9]
.LBB8_15:
	s_or_b64 exec, exec, s[16:17]
	s_andn2_b64 s[2:3], s[2:3], exec
	s_and_b64 s[0:1], s[0:1], exec
	s_or_b64 s[2:3], s[2:3], s[0:1]
	s_or_b64 exec, exec, s[6:7]
	s_and_saveexec_b64 s[0:1], s[2:3]
	s_xor_b64 s[0:1], exec, s[0:1]
	s_cbranch_execz .LBB8_3
.LBB8_16:
	s_load_dwordx2 s[2:3], s[4:5], 0x90
	v_mbcnt_lo_u32_b32 v0, -1, 0
	v_mbcnt_hi_u32_b32 v32, -1, v0
	v_readfirstlane_b32 s0, v32
	v_mov_b32_e32 v5, 0
	v_mov_b32_e32 v6, 0
	v_cmp_eq_u32_e64 s[0:1], s0, v32
	s_and_saveexec_b64 s[4:5], s[0:1]
	s_cbranch_execz .LBB8_22
; %bb.17:
	v_mov_b32_e32 v0, 0
	s_waitcnt lgkmcnt(0)
	global_load_dwordx2 v[3:4], v0, s[2:3] offset:24 glc
	s_waitcnt vmcnt(0)
	buffer_wbinvl1_vol
	global_load_dwordx2 v[1:2], v0, s[2:3] offset:40
	global_load_dwordx2 v[5:6], v0, s[2:3]
	s_waitcnt vmcnt(1)
	v_and_b32_e32 v1, v1, v3
	v_and_b32_e32 v2, v2, v4
	v_mul_lo_u32 v2, v2, 24
	v_mul_hi_u32 v7, v1, 24
	v_mul_lo_u32 v1, v1, 24
	v_add_u32_e32 v2, v7, v2
	s_waitcnt vmcnt(0)
	v_add_co_u32_e32 v1, vcc, v5, v1
	v_addc_co_u32_e32 v2, vcc, v6, v2, vcc
	global_load_dwordx2 v[1:2], v[1:2], off glc
	s_waitcnt vmcnt(0)
	global_atomic_cmpswap_x2 v[5:6], v0, v[1:4], s[2:3] offset:24 glc
	s_waitcnt vmcnt(0)
	buffer_wbinvl1_vol
	v_cmp_ne_u64_e32 vcc, v[5:6], v[3:4]
	s_and_saveexec_b64 s[6:7], vcc
	s_cbranch_execz .LBB8_21
; %bb.18:
	s_mov_b64 s[8:9], 0
.LBB8_19:                               ; =>This Inner Loop Header: Depth=1
	s_sleep 1
	global_load_dwordx2 v[1:2], v0, s[2:3] offset:40
	global_load_dwordx2 v[7:8], v0, s[2:3]
	v_mov_b32_e32 v3, v5
	v_mov_b32_e32 v4, v6
	s_waitcnt vmcnt(1)
	v_and_b32_e32 v1, v1, v3
	s_waitcnt vmcnt(0)
	v_mad_u64_u32 v[5:6], s[10:11], v1, 24, v[7:8]
	v_and_b32_e32 v2, v2, v4
	v_mov_b32_e32 v1, v6
	v_mad_u64_u32 v[1:2], s[10:11], v2, 24, v[1:2]
	v_mov_b32_e32 v6, v1
	global_load_dwordx2 v[1:2], v[5:6], off glc
	s_waitcnt vmcnt(0)
	global_atomic_cmpswap_x2 v[5:6], v0, v[1:4], s[2:3] offset:24 glc
	s_waitcnt vmcnt(0)
	buffer_wbinvl1_vol
	v_cmp_eq_u64_e32 vcc, v[5:6], v[3:4]
	s_or_b64 s[8:9], vcc, s[8:9]
	s_andn2_b64 exec, exec, s[8:9]
	s_cbranch_execnz .LBB8_19
; %bb.20:
	s_or_b64 exec, exec, s[8:9]
.LBB8_21:
	s_or_b64 exec, exec, s[6:7]
.LBB8_22:
	s_or_b64 exec, exec, s[4:5]
	v_mov_b32_e32 v4, 0
	s_waitcnt lgkmcnt(0)
	global_load_dwordx2 v[7:8], v4, s[2:3] offset:40
	global_load_dwordx4 v[0:3], v4, s[2:3]
	v_readfirstlane_b32 s5, v6
	v_readfirstlane_b32 s4, v5
	s_mov_b64 s[6:7], exec
	s_waitcnt vmcnt(1)
	v_readfirstlane_b32 s8, v7
	v_readfirstlane_b32 s9, v8
	s_and_b64 s[8:9], s[8:9], s[4:5]
	s_mul_i32 s10, s9, 24
	s_mul_hi_u32 s11, s8, 24
	s_mul_i32 s12, s8, 24
	s_add_i32 s10, s11, s10
	v_mov_b32_e32 v5, s10
	s_waitcnt vmcnt(0)
	v_add_co_u32_e32 v7, vcc, s12, v0
	v_addc_co_u32_e32 v8, vcc, v1, v5, vcc
	s_and_saveexec_b64 s[10:11], s[0:1]
	s_cbranch_execz .LBB8_24
; %bb.23:
	v_mov_b32_e32 v10, s7
	v_mov_b32_e32 v9, s6
	;; [unrolled: 1-line block ×4, first 2 shown]
	global_store_dwordx4 v[7:8], v[9:12], off offset:8
.LBB8_24:
	s_or_b64 exec, exec, s[10:11]
	s_lshl_b64 s[6:7], s[8:9], 12
	v_mov_b32_e32 v5, s7
	v_add_co_u32_e32 v2, vcc, s6, v2
	v_addc_co_u32_e32 v11, vcc, v3, v5, vcc
	v_lshlrev_b32_e32 v31, 6, v32
	s_mov_b32 s8, 0
	v_mov_b32_e32 v3, 33
	v_mov_b32_e32 v5, v4
	;; [unrolled: 1-line block ×3, first 2 shown]
	v_readfirstlane_b32 s6, v2
	v_readfirstlane_b32 s7, v11
	v_add_co_u32_e32 v9, vcc, v2, v31
	s_mov_b32 s9, s8
	s_mov_b32 s10, s8
	s_mov_b32 s11, s8
	s_nop 0
	global_store_dwordx4 v31, v[3:6], s[6:7]
	v_mov_b32_e32 v2, s8
	v_addc_co_u32_e32 v10, vcc, 0, v11, vcc
	v_mov_b32_e32 v3, s9
	v_mov_b32_e32 v4, s10
	;; [unrolled: 1-line block ×3, first 2 shown]
	global_store_dwordx4 v31, v[2:5], s[6:7] offset:16
	global_store_dwordx4 v31, v[2:5], s[6:7] offset:32
	;; [unrolled: 1-line block ×3, first 2 shown]
	s_and_saveexec_b64 s[6:7], s[0:1]
	s_cbranch_execz .LBB8_32
; %bb.25:
	v_mov_b32_e32 v6, 0
	global_load_dwordx2 v[13:14], v6, s[2:3] offset:32 glc
	global_load_dwordx2 v[2:3], v6, s[2:3] offset:40
	v_mov_b32_e32 v11, s4
	v_mov_b32_e32 v12, s5
	s_waitcnt vmcnt(0)
	v_and_b32_e32 v2, s4, v2
	v_and_b32_e32 v3, s5, v3
	v_mul_lo_u32 v3, v3, 24
	v_mul_hi_u32 v4, v2, 24
	v_mul_lo_u32 v2, v2, 24
	v_add_u32_e32 v3, v4, v3
	v_add_co_u32_e32 v4, vcc, v0, v2
	v_addc_co_u32_e32 v5, vcc, v1, v3, vcc
	global_store_dwordx2 v[4:5], v[13:14], off
	s_waitcnt vmcnt(0)
	global_atomic_cmpswap_x2 v[2:3], v6, v[11:14], s[2:3] offset:32 glc
	s_waitcnt vmcnt(0)
	v_cmp_ne_u64_e32 vcc, v[2:3], v[13:14]
	s_and_saveexec_b64 s[8:9], vcc
	s_cbranch_execz .LBB8_28
; %bb.26:
	s_mov_b64 s[10:11], 0
.LBB8_27:                               ; =>This Inner Loop Header: Depth=1
	s_sleep 1
	global_store_dwordx2 v[4:5], v[2:3], off
	v_mov_b32_e32 v0, s4
	v_mov_b32_e32 v1, s5
	s_waitcnt vmcnt(0)
	global_atomic_cmpswap_x2 v[0:1], v6, v[0:3], s[2:3] offset:32 glc
	s_waitcnt vmcnt(0)
	v_cmp_eq_u64_e32 vcc, v[0:1], v[2:3]
	v_mov_b32_e32 v3, v1
	s_or_b64 s[10:11], vcc, s[10:11]
	v_mov_b32_e32 v2, v0
	s_andn2_b64 exec, exec, s[10:11]
	s_cbranch_execnz .LBB8_27
.LBB8_28:
	s_or_b64 exec, exec, s[8:9]
	v_mov_b32_e32 v3, 0
	global_load_dwordx2 v[0:1], v3, s[2:3] offset:16
	s_mov_b64 s[8:9], exec
	v_mbcnt_lo_u32_b32 v2, s8, 0
	v_mbcnt_hi_u32_b32 v2, s9, v2
	v_cmp_eq_u32_e32 vcc, 0, v2
	s_and_saveexec_b64 s[10:11], vcc
	s_cbranch_execz .LBB8_30
; %bb.29:
	s_bcnt1_i32_b64 s8, s[8:9]
	v_mov_b32_e32 v2, s8
	s_waitcnt vmcnt(0)
	global_atomic_add_x2 v[0:1], v[2:3], off offset:8
.LBB8_30:
	s_or_b64 exec, exec, s[10:11]
	s_waitcnt vmcnt(0)
	global_load_dwordx2 v[2:3], v[0:1], off offset:16
	s_waitcnt vmcnt(0)
	v_cmp_eq_u64_e32 vcc, 0, v[2:3]
	s_cbranch_vccnz .LBB8_32
; %bb.31:
	global_load_dword v0, v[0:1], off offset:24
	v_mov_b32_e32 v1, 0
	s_waitcnt vmcnt(0)
	v_readfirstlane_b32 s8, v0
	s_and_b32 m0, s8, 0xffffff
	global_store_dwordx2 v[2:3], v[0:1], off
	s_sendmsg sendmsg(MSG_INTERRUPT)
.LBB8_32:
	s_or_b64 exec, exec, s[6:7]
	s_branch .LBB8_36
.LBB8_33:                               ;   in Loop: Header=BB8_36 Depth=1
	s_or_b64 exec, exec, s[6:7]
	v_readfirstlane_b32 s6, v0
	s_cmp_eq_u32 s6, 0
	s_cbranch_scc1 .LBB8_35
; %bb.34:                               ;   in Loop: Header=BB8_36 Depth=1
	s_sleep 1
	s_cbranch_execnz .LBB8_36
	s_branch .LBB8_38
.LBB8_35:
	s_branch .LBB8_38
.LBB8_36:                               ; =>This Inner Loop Header: Depth=1
	v_mov_b32_e32 v0, 1
	s_and_saveexec_b64 s[6:7], s[0:1]
	s_cbranch_execz .LBB8_33
; %bb.37:                               ;   in Loop: Header=BB8_36 Depth=1
	global_load_dword v0, v[7:8], off offset:20 glc
	s_waitcnt vmcnt(0)
	buffer_wbinvl1_vol
	v_and_b32_e32 v0, 1, v0
	s_branch .LBB8_33
.LBB8_38:
	global_load_dwordx2 v[0:1], v[9:10], off
	s_and_saveexec_b64 s[6:7], s[0:1]
	s_cbranch_execz .LBB8_41
; %bb.39:
	v_mov_b32_e32 v8, 0
	global_load_dwordx2 v[2:3], v8, s[2:3] offset:40
	global_load_dwordx2 v[11:12], v8, s[2:3] offset:24 glc
	global_load_dwordx2 v[4:5], v8, s[2:3]
	s_waitcnt vmcnt(2)
	v_readfirstlane_b32 s8, v2
	v_readfirstlane_b32 s9, v3
	s_add_u32 s10, s8, 1
	s_addc_u32 s11, s9, 0
	s_add_u32 s0, s10, s4
	s_addc_u32 s1, s11, s5
	s_cmp_eq_u64 s[0:1], 0
	s_cselect_b32 s1, s11, s1
	s_cselect_b32 s0, s10, s0
	s_and_b64 s[4:5], s[0:1], s[8:9]
	s_mul_i32 s5, s5, 24
	s_mul_hi_u32 s8, s4, 24
	s_mul_i32 s4, s4, 24
	s_add_i32 s5, s8, s5
	v_mov_b32_e32 v2, s5
	s_waitcnt vmcnt(0)
	v_add_co_u32_e32 v6, vcc, s4, v4
	v_addc_co_u32_e32 v7, vcc, v5, v2, vcc
	v_mov_b32_e32 v9, s0
	global_store_dwordx2 v[6:7], v[11:12], off
	v_mov_b32_e32 v10, s1
	s_waitcnt vmcnt(0)
	global_atomic_cmpswap_x2 v[4:5], v8, v[9:12], s[2:3] offset:24 glc
	s_mov_b64 s[4:5], 0
	s_waitcnt vmcnt(0)
	v_cmp_ne_u64_e32 vcc, v[4:5], v[11:12]
	s_and_b64 exec, exec, vcc
	s_cbranch_execz .LBB8_41
.LBB8_40:                               ; =>This Inner Loop Header: Depth=1
	s_sleep 1
	global_store_dwordx2 v[6:7], v[4:5], off
	v_mov_b32_e32 v2, s0
	v_mov_b32_e32 v3, s1
	s_waitcnt vmcnt(0)
	global_atomic_cmpswap_x2 v[2:3], v8, v[2:5], s[2:3] offset:24 glc
	s_waitcnt vmcnt(0)
	v_cmp_eq_u64_e32 vcc, v[2:3], v[4:5]
	v_mov_b32_e32 v5, v3
	s_or_b64 s[4:5], vcc, s[4:5]
	v_mov_b32_e32 v4, v2
	s_andn2_b64 exec, exec, s[4:5]
	s_cbranch_execnz .LBB8_40
.LBB8_41:
	s_or_b64 exec, exec, s[6:7]
	s_getpc_b64 s[4:5]
	s_add_u32 s4, s4, .str.2@rel32@lo+4
	s_addc_u32 s5, s5, .str.2@rel32@hi+12
	s_cmp_lg_u64 s[4:5], 0
	s_cselect_b64 s[0:1], -1, 0
	s_cmp_eq_u64 s[4:5], 0
	s_mov_b64 s[4:5], 0
	s_cbranch_scc1 .LBB8_45
; %bb.42:
	v_mov_b32_e32 v2, 0
	s_getpc_b64 s[4:5]
	s_add_u32 s4, s4, .str.2@rel32@lo+3
	s_addc_u32 s5, s5, .str.2@rel32@hi+11
.LBB8_43:                               ; =>This Inner Loop Header: Depth=1
	global_load_ubyte v3, v2, s[4:5] offset:1
	s_add_u32 s6, s4, 1
	s_addc_u32 s7, s5, 0
	s_mov_b64 s[4:5], s[6:7]
	s_waitcnt vmcnt(0)
	v_cmp_ne_u32_e32 vcc, 0, v3
	s_cbranch_vccnz .LBB8_43
; %bb.44:
	s_getpc_b64 s[4:5]
	s_add_u32 s4, s4, .str.2@rel32@lo+4
	s_addc_u32 s5, s5, .str.2@rel32@hi+12
	s_sub_u32 s4, s6, s4
	s_subb_u32 s5, s7, s5
	s_add_u32 s4, s4, 1
	s_addc_u32 s5, s5, 0
.LBB8_45:
	s_and_b64 vcc, exec, s[0:1]
	s_cbranch_vccz .LBB8_130
; %bb.46:
	s_waitcnt vmcnt(0)
	v_and_b32_e32 v33, 2, v0
	v_mov_b32_e32 v28, 0
	v_and_b32_e32 v4, -3, v0
	v_mov_b32_e32 v5, v1
	v_mov_b32_e32 v10, 2
	;; [unrolled: 1-line block ×3, first 2 shown]
	s_getpc_b64 s[6:7]
	s_add_u32 s6, s6, .str.2@rel32@lo+4
	s_addc_u32 s7, s7, .str.2@rel32@hi+12
	s_branch .LBB8_48
.LBB8_47:                               ;   in Loop: Header=BB8_48 Depth=1
	s_or_b64 exec, exec, s[12:13]
	s_sub_u32 s4, s4, s8
	s_subb_u32 s5, s5, s9
	s_add_u32 s6, s6, s8
	s_addc_u32 s7, s7, s9
	s_cmp_lg_u64 s[4:5], 0
	s_cbranch_scc0 .LBB8_131
.LBB8_48:                               ; =>This Loop Header: Depth=1
                                        ;     Child Loop BB8_51 Depth 2
                                        ;     Child Loop BB8_59 Depth 2
                                        ;     Child Loop BB8_67 Depth 2
                                        ;     Child Loop BB8_75 Depth 2
                                        ;     Child Loop BB8_83 Depth 2
                                        ;     Child Loop BB8_91 Depth 2
                                        ;     Child Loop BB8_99 Depth 2
                                        ;     Child Loop BB8_107 Depth 2
                                        ;     Child Loop BB8_115 Depth 2
                                        ;     Child Loop BB8_124 Depth 2
                                        ;     Child Loop BB8_129 Depth 2
	v_cmp_lt_u64_e64 s[0:1], s[4:5], 56
	v_cmp_gt_u64_e64 s[10:11], s[4:5], 7
	s_and_b64 s[0:1], s[0:1], exec
	s_cselect_b32 s9, s5, 0
	s_cselect_b32 s8, s4, 56
	s_add_u32 s0, s6, 8
	s_addc_u32 s1, s7, 0
	s_and_b64 vcc, exec, s[10:11]
	s_cbranch_vccnz .LBB8_52
; %bb.49:                               ;   in Loop: Header=BB8_48 Depth=1
	s_cmp_eq_u64 s[4:5], 0
	s_cbranch_scc1 .LBB8_53
; %bb.50:                               ;   in Loop: Header=BB8_48 Depth=1
	v_mov_b32_e32 v6, 0
	s_lshl_b64 s[0:1], s[8:9], 3
	s_mov_b64 s[10:11], 0
	v_mov_b32_e32 v7, 0
	s_mov_b64 s[12:13], s[6:7]
.LBB8_51:                               ;   Parent Loop BB8_48 Depth=1
                                        ; =>  This Inner Loop Header: Depth=2
	global_load_ubyte v2, v28, s[12:13]
	s_waitcnt vmcnt(0)
	v_and_b32_e32 v27, 0xffff, v2
	v_lshlrev_b64 v[2:3], s10, v[27:28]
	s_add_u32 s10, s10, 8
	s_addc_u32 s11, s11, 0
	s_add_u32 s12, s12, 1
	s_addc_u32 s13, s13, 0
	v_or_b32_e32 v6, v2, v6
	s_cmp_lg_u32 s0, s10
	v_or_b32_e32 v7, v3, v7
	s_cbranch_scc1 .LBB8_51
	s_branch .LBB8_54
.LBB8_52:                               ;   in Loop: Header=BB8_48 Depth=1
	s_mov_b32 s14, 0
	s_branch .LBB8_55
.LBB8_53:                               ;   in Loop: Header=BB8_48 Depth=1
	v_mov_b32_e32 v6, 0
	v_mov_b32_e32 v7, 0
.LBB8_54:                               ;   in Loop: Header=BB8_48 Depth=1
	s_mov_b64 s[0:1], s[6:7]
	s_mov_b32 s14, 0
	s_cbranch_execnz .LBB8_56
.LBB8_55:                               ;   in Loop: Header=BB8_48 Depth=1
	global_load_dwordx2 v[6:7], v28, s[6:7]
	s_add_i32 s14, s8, -8
.LBB8_56:                               ;   in Loop: Header=BB8_48 Depth=1
	s_add_u32 s10, s0, 8
	s_addc_u32 s11, s1, 0
	s_cmp_gt_u32 s14, 7
	s_cbranch_scc1 .LBB8_60
; %bb.57:                               ;   in Loop: Header=BB8_48 Depth=1
	s_cmp_eq_u32 s14, 0
	s_cbranch_scc1 .LBB8_61
; %bb.58:                               ;   in Loop: Header=BB8_48 Depth=1
	v_mov_b32_e32 v12, 0
	s_mov_b64 s[10:11], 0
	v_mov_b32_e32 v13, 0
	s_mov_b64 s[12:13], 0
.LBB8_59:                               ;   Parent Loop BB8_48 Depth=1
                                        ; =>  This Inner Loop Header: Depth=2
	s_add_u32 s16, s0, s12
	s_addc_u32 s17, s1, s13
	global_load_ubyte v2, v28, s[16:17]
	s_add_u32 s12, s12, 1
	s_addc_u32 s13, s13, 0
	s_waitcnt vmcnt(0)
	v_and_b32_e32 v27, 0xffff, v2
	v_lshlrev_b64 v[2:3], s10, v[27:28]
	s_add_u32 s10, s10, 8
	s_addc_u32 s11, s11, 0
	v_or_b32_e32 v12, v2, v12
	s_cmp_lg_u32 s14, s12
	v_or_b32_e32 v13, v3, v13
	s_cbranch_scc1 .LBB8_59
	s_branch .LBB8_62
.LBB8_60:                               ;   in Loop: Header=BB8_48 Depth=1
                                        ; implicit-def: $vgpr12_vgpr13
	s_mov_b32 s15, 0
	s_branch .LBB8_63
.LBB8_61:                               ;   in Loop: Header=BB8_48 Depth=1
	v_mov_b32_e32 v12, 0
	v_mov_b32_e32 v13, 0
.LBB8_62:                               ;   in Loop: Header=BB8_48 Depth=1
	s_mov_b64 s[10:11], s[0:1]
	s_mov_b32 s15, 0
	s_cbranch_execnz .LBB8_64
.LBB8_63:                               ;   in Loop: Header=BB8_48 Depth=1
	global_load_dwordx2 v[12:13], v28, s[0:1]
	s_add_i32 s15, s14, -8
.LBB8_64:                               ;   in Loop: Header=BB8_48 Depth=1
	s_add_u32 s0, s10, 8
	s_addc_u32 s1, s11, 0
	s_cmp_gt_u32 s15, 7
	s_cbranch_scc1 .LBB8_68
; %bb.65:                               ;   in Loop: Header=BB8_48 Depth=1
	s_cmp_eq_u32 s15, 0
	s_cbranch_scc1 .LBB8_69
; %bb.66:                               ;   in Loop: Header=BB8_48 Depth=1
	v_mov_b32_e32 v14, 0
	s_mov_b64 s[0:1], 0
	v_mov_b32_e32 v15, 0
	s_mov_b64 s[12:13], 0
.LBB8_67:                               ;   Parent Loop BB8_48 Depth=1
                                        ; =>  This Inner Loop Header: Depth=2
	s_add_u32 s16, s10, s12
	s_addc_u32 s17, s11, s13
	global_load_ubyte v2, v28, s[16:17]
	s_add_u32 s12, s12, 1
	s_addc_u32 s13, s13, 0
	s_waitcnt vmcnt(0)
	v_and_b32_e32 v27, 0xffff, v2
	v_lshlrev_b64 v[2:3], s0, v[27:28]
	s_add_u32 s0, s0, 8
	s_addc_u32 s1, s1, 0
	v_or_b32_e32 v14, v2, v14
	s_cmp_lg_u32 s15, s12
	v_or_b32_e32 v15, v3, v15
	s_cbranch_scc1 .LBB8_67
	s_branch .LBB8_70
.LBB8_68:                               ;   in Loop: Header=BB8_48 Depth=1
	s_mov_b32 s14, 0
	s_branch .LBB8_71
.LBB8_69:                               ;   in Loop: Header=BB8_48 Depth=1
	v_mov_b32_e32 v14, 0
	v_mov_b32_e32 v15, 0
.LBB8_70:                               ;   in Loop: Header=BB8_48 Depth=1
	s_mov_b64 s[0:1], s[10:11]
	s_mov_b32 s14, 0
	s_cbranch_execnz .LBB8_72
.LBB8_71:                               ;   in Loop: Header=BB8_48 Depth=1
	global_load_dwordx2 v[14:15], v28, s[10:11]
	s_add_i32 s14, s15, -8
.LBB8_72:                               ;   in Loop: Header=BB8_48 Depth=1
	s_add_u32 s10, s0, 8
	s_addc_u32 s11, s1, 0
	s_cmp_gt_u32 s14, 7
	s_cbranch_scc1 .LBB8_76
; %bb.73:                               ;   in Loop: Header=BB8_48 Depth=1
	s_cmp_eq_u32 s14, 0
	s_cbranch_scc1 .LBB8_77
; %bb.74:                               ;   in Loop: Header=BB8_48 Depth=1
	v_mov_b32_e32 v16, 0
	s_mov_b64 s[10:11], 0
	v_mov_b32_e32 v17, 0
	s_mov_b64 s[12:13], 0
.LBB8_75:                               ;   Parent Loop BB8_48 Depth=1
                                        ; =>  This Inner Loop Header: Depth=2
	s_add_u32 s16, s0, s12
	s_addc_u32 s17, s1, s13
	global_load_ubyte v2, v28, s[16:17]
	s_add_u32 s12, s12, 1
	s_addc_u32 s13, s13, 0
	s_waitcnt vmcnt(0)
	v_and_b32_e32 v27, 0xffff, v2
	v_lshlrev_b64 v[2:3], s10, v[27:28]
	s_add_u32 s10, s10, 8
	s_addc_u32 s11, s11, 0
	v_or_b32_e32 v16, v2, v16
	s_cmp_lg_u32 s14, s12
	v_or_b32_e32 v17, v3, v17
	s_cbranch_scc1 .LBB8_75
	s_branch .LBB8_78
.LBB8_76:                               ;   in Loop: Header=BB8_48 Depth=1
                                        ; implicit-def: $vgpr16_vgpr17
	s_mov_b32 s15, 0
	s_branch .LBB8_79
.LBB8_77:                               ;   in Loop: Header=BB8_48 Depth=1
	v_mov_b32_e32 v16, 0
	v_mov_b32_e32 v17, 0
.LBB8_78:                               ;   in Loop: Header=BB8_48 Depth=1
	s_mov_b64 s[10:11], s[0:1]
	s_mov_b32 s15, 0
	s_cbranch_execnz .LBB8_80
.LBB8_79:                               ;   in Loop: Header=BB8_48 Depth=1
	global_load_dwordx2 v[16:17], v28, s[0:1]
	s_add_i32 s15, s14, -8
.LBB8_80:                               ;   in Loop: Header=BB8_48 Depth=1
	s_add_u32 s0, s10, 8
	s_addc_u32 s1, s11, 0
	s_cmp_gt_u32 s15, 7
	s_cbranch_scc1 .LBB8_84
; %bb.81:                               ;   in Loop: Header=BB8_48 Depth=1
	s_cmp_eq_u32 s15, 0
	s_cbranch_scc1 .LBB8_85
; %bb.82:                               ;   in Loop: Header=BB8_48 Depth=1
	v_mov_b32_e32 v18, 0
	s_mov_b64 s[0:1], 0
	v_mov_b32_e32 v19, 0
	s_mov_b64 s[12:13], 0
.LBB8_83:                               ;   Parent Loop BB8_48 Depth=1
                                        ; =>  This Inner Loop Header: Depth=2
	s_add_u32 s16, s10, s12
	s_addc_u32 s17, s11, s13
	global_load_ubyte v2, v28, s[16:17]
	s_add_u32 s12, s12, 1
	s_addc_u32 s13, s13, 0
	s_waitcnt vmcnt(0)
	v_and_b32_e32 v27, 0xffff, v2
	v_lshlrev_b64 v[2:3], s0, v[27:28]
	s_add_u32 s0, s0, 8
	s_addc_u32 s1, s1, 0
	v_or_b32_e32 v18, v2, v18
	s_cmp_lg_u32 s15, s12
	v_or_b32_e32 v19, v3, v19
	s_cbranch_scc1 .LBB8_83
	s_branch .LBB8_86
.LBB8_84:                               ;   in Loop: Header=BB8_48 Depth=1
	s_mov_b32 s14, 0
	s_branch .LBB8_87
.LBB8_85:                               ;   in Loop: Header=BB8_48 Depth=1
	v_mov_b32_e32 v18, 0
	v_mov_b32_e32 v19, 0
.LBB8_86:                               ;   in Loop: Header=BB8_48 Depth=1
	s_mov_b64 s[0:1], s[10:11]
	s_mov_b32 s14, 0
	s_cbranch_execnz .LBB8_88
.LBB8_87:                               ;   in Loop: Header=BB8_48 Depth=1
	global_load_dwordx2 v[18:19], v28, s[10:11]
	s_add_i32 s14, s15, -8
.LBB8_88:                               ;   in Loop: Header=BB8_48 Depth=1
	s_add_u32 s10, s0, 8
	s_addc_u32 s11, s1, 0
	s_cmp_gt_u32 s14, 7
	s_cbranch_scc1 .LBB8_92
; %bb.89:                               ;   in Loop: Header=BB8_48 Depth=1
	s_cmp_eq_u32 s14, 0
	s_cbranch_scc1 .LBB8_93
; %bb.90:                               ;   in Loop: Header=BB8_48 Depth=1
	v_mov_b32_e32 v20, 0
	s_mov_b64 s[10:11], 0
	v_mov_b32_e32 v21, 0
	s_mov_b64 s[12:13], 0
.LBB8_91:                               ;   Parent Loop BB8_48 Depth=1
                                        ; =>  This Inner Loop Header: Depth=2
	s_add_u32 s16, s0, s12
	s_addc_u32 s17, s1, s13
	global_load_ubyte v2, v28, s[16:17]
	s_add_u32 s12, s12, 1
	s_addc_u32 s13, s13, 0
	s_waitcnt vmcnt(0)
	v_and_b32_e32 v27, 0xffff, v2
	v_lshlrev_b64 v[2:3], s10, v[27:28]
	s_add_u32 s10, s10, 8
	s_addc_u32 s11, s11, 0
	v_or_b32_e32 v20, v2, v20
	s_cmp_lg_u32 s14, s12
	v_or_b32_e32 v21, v3, v21
	s_cbranch_scc1 .LBB8_91
	s_branch .LBB8_94
.LBB8_92:                               ;   in Loop: Header=BB8_48 Depth=1
                                        ; implicit-def: $vgpr20_vgpr21
	s_mov_b32 s15, 0
	s_branch .LBB8_95
.LBB8_93:                               ;   in Loop: Header=BB8_48 Depth=1
	v_mov_b32_e32 v20, 0
	v_mov_b32_e32 v21, 0
.LBB8_94:                               ;   in Loop: Header=BB8_48 Depth=1
	s_mov_b64 s[10:11], s[0:1]
	s_mov_b32 s15, 0
	s_cbranch_execnz .LBB8_96
.LBB8_95:                               ;   in Loop: Header=BB8_48 Depth=1
	global_load_dwordx2 v[20:21], v28, s[0:1]
	s_add_i32 s15, s14, -8
.LBB8_96:                               ;   in Loop: Header=BB8_48 Depth=1
	s_cmp_gt_u32 s15, 7
	s_cbranch_scc1 .LBB8_100
; %bb.97:                               ;   in Loop: Header=BB8_48 Depth=1
	s_cmp_eq_u32 s15, 0
	s_cbranch_scc1 .LBB8_101
; %bb.98:                               ;   in Loop: Header=BB8_48 Depth=1
	v_mov_b32_e32 v22, 0
	s_mov_b64 s[0:1], 0
	v_mov_b32_e32 v23, 0
	s_mov_b64 s[12:13], s[10:11]
.LBB8_99:                               ;   Parent Loop BB8_48 Depth=1
                                        ; =>  This Inner Loop Header: Depth=2
	global_load_ubyte v2, v28, s[12:13]
	s_add_i32 s15, s15, -1
	s_waitcnt vmcnt(0)
	v_and_b32_e32 v27, 0xffff, v2
	v_lshlrev_b64 v[2:3], s0, v[27:28]
	s_add_u32 s0, s0, 8
	s_addc_u32 s1, s1, 0
	s_add_u32 s12, s12, 1
	s_addc_u32 s13, s13, 0
	v_or_b32_e32 v22, v2, v22
	s_cmp_lg_u32 s15, 0
	v_or_b32_e32 v23, v3, v23
	s_cbranch_scc1 .LBB8_99
	s_branch .LBB8_102
.LBB8_100:                              ;   in Loop: Header=BB8_48 Depth=1
	s_branch .LBB8_103
.LBB8_101:                              ;   in Loop: Header=BB8_48 Depth=1
	v_mov_b32_e32 v22, 0
	v_mov_b32_e32 v23, 0
.LBB8_102:                              ;   in Loop: Header=BB8_48 Depth=1
	s_cbranch_execnz .LBB8_104
.LBB8_103:                              ;   in Loop: Header=BB8_48 Depth=1
	global_load_dwordx2 v[22:23], v28, s[10:11]
.LBB8_104:                              ;   in Loop: Header=BB8_48 Depth=1
	v_readfirstlane_b32 s0, v32
	v_mov_b32_e32 v2, 0
	v_mov_b32_e32 v3, 0
	v_cmp_eq_u32_e64 s[0:1], s0, v32
	s_and_saveexec_b64 s[10:11], s[0:1]
	s_cbranch_execz .LBB8_110
; %bb.105:                              ;   in Loop: Header=BB8_48 Depth=1
	global_load_dwordx2 v[26:27], v28, s[2:3] offset:24 glc
	s_waitcnt vmcnt(0)
	buffer_wbinvl1_vol
	global_load_dwordx2 v[2:3], v28, s[2:3] offset:40
	global_load_dwordx2 v[8:9], v28, s[2:3]
	s_waitcnt vmcnt(1)
	v_and_b32_e32 v2, v2, v26
	v_and_b32_e32 v3, v3, v27
	v_mul_lo_u32 v3, v3, 24
	v_mul_hi_u32 v24, v2, 24
	v_mul_lo_u32 v2, v2, 24
	v_add_u32_e32 v3, v24, v3
	s_waitcnt vmcnt(0)
	v_add_co_u32_e32 v2, vcc, v8, v2
	v_addc_co_u32_e32 v3, vcc, v9, v3, vcc
	global_load_dwordx2 v[24:25], v[2:3], off glc
	s_waitcnt vmcnt(0)
	global_atomic_cmpswap_x2 v[2:3], v28, v[24:27], s[2:3] offset:24 glc
	s_waitcnt vmcnt(0)
	buffer_wbinvl1_vol
	v_cmp_ne_u64_e32 vcc, v[2:3], v[26:27]
	s_and_saveexec_b64 s[12:13], vcc
	s_cbranch_execz .LBB8_109
; %bb.106:                              ;   in Loop: Header=BB8_48 Depth=1
	s_mov_b64 s[14:15], 0
.LBB8_107:                              ;   Parent Loop BB8_48 Depth=1
                                        ; =>  This Inner Loop Header: Depth=2
	s_sleep 1
	global_load_dwordx2 v[8:9], v28, s[2:3] offset:40
	global_load_dwordx2 v[24:25], v28, s[2:3]
	v_mov_b32_e32 v27, v3
	v_mov_b32_e32 v26, v2
	s_waitcnt vmcnt(1)
	v_and_b32_e32 v2, v8, v26
	s_waitcnt vmcnt(0)
	v_mad_u64_u32 v[2:3], s[16:17], v2, 24, v[24:25]
	v_and_b32_e32 v8, v9, v27
	v_mad_u64_u32 v[8:9], s[16:17], v8, 24, v[3:4]
	v_mov_b32_e32 v3, v8
	global_load_dwordx2 v[24:25], v[2:3], off glc
	s_waitcnt vmcnt(0)
	global_atomic_cmpswap_x2 v[2:3], v28, v[24:27], s[2:3] offset:24 glc
	s_waitcnt vmcnt(0)
	buffer_wbinvl1_vol
	v_cmp_eq_u64_e32 vcc, v[2:3], v[26:27]
	s_or_b64 s[14:15], vcc, s[14:15]
	s_andn2_b64 exec, exec, s[14:15]
	s_cbranch_execnz .LBB8_107
; %bb.108:                              ;   in Loop: Header=BB8_48 Depth=1
	s_or_b64 exec, exec, s[14:15]
.LBB8_109:                              ;   in Loop: Header=BB8_48 Depth=1
	s_or_b64 exec, exec, s[12:13]
.LBB8_110:                              ;   in Loop: Header=BB8_48 Depth=1
	s_or_b64 exec, exec, s[10:11]
	global_load_dwordx2 v[8:9], v28, s[2:3] offset:40
	global_load_dwordx4 v[24:27], v28, s[2:3]
	v_readfirstlane_b32 s11, v3
	v_readfirstlane_b32 s10, v2
	s_mov_b64 s[12:13], exec
	s_waitcnt vmcnt(1)
	v_readfirstlane_b32 s14, v8
	v_readfirstlane_b32 s15, v9
	s_and_b64 s[14:15], s[14:15], s[10:11]
	s_mul_i32 s16, s15, 24
	s_mul_hi_u32 s17, s14, 24
	s_mul_i32 s18, s14, 24
	s_add_i32 s16, s17, s16
	v_mov_b32_e32 v2, s16
	s_waitcnt vmcnt(0)
	v_add_co_u32_e32 v29, vcc, s18, v24
	v_addc_co_u32_e32 v30, vcc, v25, v2, vcc
	s_and_saveexec_b64 s[16:17], s[0:1]
	s_cbranch_execz .LBB8_112
; %bb.111:                              ;   in Loop: Header=BB8_48 Depth=1
	v_mov_b32_e32 v8, s12
	v_mov_b32_e32 v9, s13
	global_store_dwordx4 v[29:30], v[8:11], off offset:8
.LBB8_112:                              ;   in Loop: Header=BB8_48 Depth=1
	s_or_b64 exec, exec, s[16:17]
	s_lshl_b64 s[12:13], s[14:15], 12
	v_mov_b32_e32 v2, s13
	v_add_co_u32_e32 v8, vcc, s12, v26
	v_addc_co_u32_e32 v9, vcc, v27, v2, vcc
	v_cmp_lt_u64_e64 vcc, s[4:5], 57
	s_lshl_b32 s12, s8, 2
	v_cndmask_b32_e32 v2, 0, v33, vcc
	s_add_i32 s12, s12, 28
	v_and_b32_e32 v3, 0xffffff1f, v4
	s_and_b32 s12, s12, 0x1e0
	v_or_b32_e32 v2, v3, v2
	v_or_b32_e32 v4, s12, v2
	v_readfirstlane_b32 s12, v8
	v_readfirstlane_b32 s13, v9
	s_nop 4
	global_store_dwordx4 v31, v[4:7], s[12:13]
	global_store_dwordx4 v31, v[12:15], s[12:13] offset:16
	global_store_dwordx4 v31, v[16:19], s[12:13] offset:32
	;; [unrolled: 1-line block ×3, first 2 shown]
	s_and_saveexec_b64 s[12:13], s[0:1]
	s_cbranch_execz .LBB8_120
; %bb.113:                              ;   in Loop: Header=BB8_48 Depth=1
	global_load_dwordx2 v[14:15], v28, s[2:3] offset:32 glc
	global_load_dwordx2 v[2:3], v28, s[2:3] offset:40
	v_mov_b32_e32 v12, s10
	v_mov_b32_e32 v13, s11
	s_waitcnt vmcnt(0)
	v_readfirstlane_b32 s14, v2
	v_readfirstlane_b32 s15, v3
	s_and_b64 s[14:15], s[14:15], s[10:11]
	s_mul_i32 s15, s15, 24
	s_mul_hi_u32 s16, s14, 24
	s_mul_i32 s14, s14, 24
	s_add_i32 s15, s16, s15
	v_mov_b32_e32 v2, s15
	v_add_co_u32_e32 v6, vcc, s14, v24
	v_addc_co_u32_e32 v7, vcc, v25, v2, vcc
	global_store_dwordx2 v[6:7], v[14:15], off
	s_waitcnt vmcnt(0)
	global_atomic_cmpswap_x2 v[4:5], v28, v[12:15], s[2:3] offset:32 glc
	s_waitcnt vmcnt(0)
	v_cmp_ne_u64_e32 vcc, v[4:5], v[14:15]
	s_and_saveexec_b64 s[14:15], vcc
	s_cbranch_execz .LBB8_116
; %bb.114:                              ;   in Loop: Header=BB8_48 Depth=1
	s_mov_b64 s[16:17], 0
.LBB8_115:                              ;   Parent Loop BB8_48 Depth=1
                                        ; =>  This Inner Loop Header: Depth=2
	s_sleep 1
	global_store_dwordx2 v[6:7], v[4:5], off
	v_mov_b32_e32 v2, s10
	v_mov_b32_e32 v3, s11
	s_waitcnt vmcnt(0)
	global_atomic_cmpswap_x2 v[2:3], v28, v[2:5], s[2:3] offset:32 glc
	s_waitcnt vmcnt(0)
	v_cmp_eq_u64_e32 vcc, v[2:3], v[4:5]
	v_mov_b32_e32 v5, v3
	s_or_b64 s[16:17], vcc, s[16:17]
	v_mov_b32_e32 v4, v2
	s_andn2_b64 exec, exec, s[16:17]
	s_cbranch_execnz .LBB8_115
.LBB8_116:                              ;   in Loop: Header=BB8_48 Depth=1
	s_or_b64 exec, exec, s[14:15]
	global_load_dwordx2 v[2:3], v28, s[2:3] offset:16
	s_mov_b64 s[16:17], exec
	v_mbcnt_lo_u32_b32 v4, s16, 0
	v_mbcnt_hi_u32_b32 v4, s17, v4
	v_cmp_eq_u32_e32 vcc, 0, v4
	s_and_saveexec_b64 s[14:15], vcc
	s_cbranch_execz .LBB8_118
; %bb.117:                              ;   in Loop: Header=BB8_48 Depth=1
	s_bcnt1_i32_b64 s16, s[16:17]
	v_mov_b32_e32 v27, s16
	s_waitcnt vmcnt(0)
	global_atomic_add_x2 v[2:3], v[27:28], off offset:8
.LBB8_118:                              ;   in Loop: Header=BB8_48 Depth=1
	s_or_b64 exec, exec, s[14:15]
	s_waitcnt vmcnt(0)
	global_load_dwordx2 v[4:5], v[2:3], off offset:16
	s_waitcnt vmcnt(0)
	v_cmp_eq_u64_e32 vcc, 0, v[4:5]
	s_cbranch_vccnz .LBB8_120
; %bb.119:                              ;   in Loop: Header=BB8_48 Depth=1
	global_load_dword v27, v[2:3], off offset:24
	s_waitcnt vmcnt(0)
	v_readfirstlane_b32 s14, v27
	s_and_b32 m0, s14, 0xffffff
	global_store_dwordx2 v[4:5], v[27:28], off
	s_sendmsg sendmsg(MSG_INTERRUPT)
.LBB8_120:                              ;   in Loop: Header=BB8_48 Depth=1
	s_or_b64 exec, exec, s[12:13]
	v_add_co_u32_e32 v2, vcc, v8, v31
	v_addc_co_u32_e32 v3, vcc, 0, v9, vcc
	s_branch .LBB8_124
.LBB8_121:                              ;   in Loop: Header=BB8_124 Depth=2
	s_or_b64 exec, exec, s[12:13]
	v_readfirstlane_b32 s12, v4
	s_cmp_eq_u32 s12, 0
	s_cbranch_scc1 .LBB8_123
; %bb.122:                              ;   in Loop: Header=BB8_124 Depth=2
	s_sleep 1
	s_cbranch_execnz .LBB8_124
	s_branch .LBB8_126
.LBB8_123:                              ;   in Loop: Header=BB8_48 Depth=1
	s_branch .LBB8_126
.LBB8_124:                              ;   Parent Loop BB8_48 Depth=1
                                        ; =>  This Inner Loop Header: Depth=2
	v_mov_b32_e32 v4, 1
	s_and_saveexec_b64 s[12:13], s[0:1]
	s_cbranch_execz .LBB8_121
; %bb.125:                              ;   in Loop: Header=BB8_124 Depth=2
	global_load_dword v4, v[29:30], off offset:20 glc
	s_waitcnt vmcnt(0)
	buffer_wbinvl1_vol
	v_and_b32_e32 v4, 1, v4
	s_branch .LBB8_121
.LBB8_126:                              ;   in Loop: Header=BB8_48 Depth=1
	global_load_dwordx2 v[4:5], v[2:3], off
	s_and_saveexec_b64 s[12:13], s[0:1]
	s_cbranch_execz .LBB8_47
; %bb.127:                              ;   in Loop: Header=BB8_48 Depth=1
	global_load_dwordx2 v[2:3], v28, s[2:3] offset:40
	global_load_dwordx2 v[14:15], v28, s[2:3] offset:24 glc
	global_load_dwordx2 v[6:7], v28, s[2:3]
	s_waitcnt vmcnt(2)
	v_readfirstlane_b32 s14, v2
	v_readfirstlane_b32 s15, v3
	s_add_u32 s16, s14, 1
	s_addc_u32 s17, s15, 0
	s_add_u32 s0, s16, s10
	s_addc_u32 s1, s17, s11
	s_cmp_eq_u64 s[0:1], 0
	s_cselect_b32 s1, s17, s1
	s_cselect_b32 s0, s16, s0
	s_and_b64 s[10:11], s[0:1], s[14:15]
	s_mul_i32 s11, s11, 24
	s_mul_hi_u32 s14, s10, 24
	s_mul_i32 s10, s10, 24
	s_add_i32 s11, s14, s11
	v_mov_b32_e32 v3, s11
	s_waitcnt vmcnt(0)
	v_add_co_u32_e32 v2, vcc, s10, v6
	v_addc_co_u32_e32 v3, vcc, v7, v3, vcc
	v_mov_b32_e32 v12, s0
	global_store_dwordx2 v[2:3], v[14:15], off
	v_mov_b32_e32 v13, s1
	s_waitcnt vmcnt(0)
	global_atomic_cmpswap_x2 v[8:9], v28, v[12:15], s[2:3] offset:24 glc
	s_waitcnt vmcnt(0)
	v_cmp_ne_u64_e32 vcc, v[8:9], v[14:15]
	s_and_b64 exec, exec, vcc
	s_cbranch_execz .LBB8_47
; %bb.128:                              ;   in Loop: Header=BB8_48 Depth=1
	s_mov_b64 s[10:11], 0
.LBB8_129:                              ;   Parent Loop BB8_48 Depth=1
                                        ; =>  This Inner Loop Header: Depth=2
	s_sleep 1
	global_store_dwordx2 v[2:3], v[8:9], off
	v_mov_b32_e32 v6, s0
	v_mov_b32_e32 v7, s1
	s_waitcnt vmcnt(0)
	global_atomic_cmpswap_x2 v[6:7], v28, v[6:9], s[2:3] offset:24 glc
	s_waitcnt vmcnt(0)
	v_cmp_eq_u64_e32 vcc, v[6:7], v[8:9]
	v_mov_b32_e32 v9, v7
	s_or_b64 s[10:11], vcc, s[10:11]
	v_mov_b32_e32 v8, v6
	s_andn2_b64 exec, exec, s[10:11]
	s_cbranch_execnz .LBB8_129
	s_branch .LBB8_47
.LBB8_130:
	s_mov_b64 s[0:1], -1
                                        ; implicit-def: $vgpr4_vgpr5
	s_branch .LBB8_132
.LBB8_131:
	s_mov_b64 s[0:1], 0
.LBB8_132:
	s_and_b64 vcc, exec, s[0:1]
	s_cbranch_vccz .LBB8_159
; %bb.133:
	v_readfirstlane_b32 s0, v32
	v_mov_b32_e32 v8, 0
	v_mov_b32_e32 v9, 0
	v_cmp_eq_u32_e64 s[0:1], s0, v32
	s_and_saveexec_b64 s[4:5], s[0:1]
	s_cbranch_execz .LBB8_139
; %bb.134:
	v_mov_b32_e32 v2, 0
	global_load_dwordx2 v[5:6], v2, s[2:3] offset:24 glc
	s_waitcnt vmcnt(0)
	buffer_wbinvl1_vol
	global_load_dwordx2 v[3:4], v2, s[2:3] offset:40
	global_load_dwordx2 v[7:8], v2, s[2:3]
	s_waitcnt vmcnt(1)
	v_and_b32_e32 v3, v3, v5
	v_and_b32_e32 v4, v4, v6
	v_mul_lo_u32 v4, v4, 24
	v_mul_hi_u32 v9, v3, 24
	v_mul_lo_u32 v3, v3, 24
	v_add_u32_e32 v4, v9, v4
	s_waitcnt vmcnt(0)
	v_add_co_u32_e32 v3, vcc, v7, v3
	v_addc_co_u32_e32 v4, vcc, v8, v4, vcc
	global_load_dwordx2 v[3:4], v[3:4], off glc
	s_waitcnt vmcnt(0)
	global_atomic_cmpswap_x2 v[8:9], v2, v[3:6], s[2:3] offset:24 glc
	s_waitcnt vmcnt(0)
	buffer_wbinvl1_vol
	v_cmp_ne_u64_e32 vcc, v[8:9], v[5:6]
	s_and_saveexec_b64 s[6:7], vcc
	s_cbranch_execz .LBB8_138
; %bb.135:
	s_mov_b64 s[8:9], 0
.LBB8_136:                              ; =>This Inner Loop Header: Depth=1
	s_sleep 1
	global_load_dwordx2 v[3:4], v2, s[2:3] offset:40
	global_load_dwordx2 v[10:11], v2, s[2:3]
	v_mov_b32_e32 v5, v8
	v_mov_b32_e32 v6, v9
	s_waitcnt vmcnt(1)
	v_and_b32_e32 v3, v3, v5
	s_waitcnt vmcnt(0)
	v_mad_u64_u32 v[7:8], s[10:11], v3, 24, v[10:11]
	v_and_b32_e32 v4, v4, v6
	v_mov_b32_e32 v3, v8
	v_mad_u64_u32 v[3:4], s[10:11], v4, 24, v[3:4]
	v_mov_b32_e32 v8, v3
	global_load_dwordx2 v[3:4], v[7:8], off glc
	s_waitcnt vmcnt(0)
	global_atomic_cmpswap_x2 v[8:9], v2, v[3:6], s[2:3] offset:24 glc
	s_waitcnt vmcnt(0)
	buffer_wbinvl1_vol
	v_cmp_eq_u64_e32 vcc, v[8:9], v[5:6]
	s_or_b64 s[8:9], vcc, s[8:9]
	s_andn2_b64 exec, exec, s[8:9]
	s_cbranch_execnz .LBB8_136
; %bb.137:
	s_or_b64 exec, exec, s[8:9]
.LBB8_138:
	s_or_b64 exec, exec, s[6:7]
.LBB8_139:
	s_or_b64 exec, exec, s[4:5]
	v_mov_b32_e32 v2, 0
	global_load_dwordx2 v[10:11], v2, s[2:3] offset:40
	global_load_dwordx4 v[4:7], v2, s[2:3]
	v_readfirstlane_b32 s5, v9
	v_readfirstlane_b32 s4, v8
	s_mov_b64 s[6:7], exec
	s_waitcnt vmcnt(1)
	v_readfirstlane_b32 s8, v10
	v_readfirstlane_b32 s9, v11
	s_and_b64 s[8:9], s[8:9], s[4:5]
	s_mul_i32 s10, s9, 24
	s_mul_hi_u32 s11, s8, 24
	s_mul_i32 s12, s8, 24
	s_add_i32 s10, s11, s10
	v_mov_b32_e32 v3, s10
	s_waitcnt vmcnt(0)
	v_add_co_u32_e32 v8, vcc, s12, v4
	v_addc_co_u32_e32 v9, vcc, v5, v3, vcc
	s_and_saveexec_b64 s[10:11], s[0:1]
	s_cbranch_execz .LBB8_141
; %bb.140:
	v_mov_b32_e32 v11, s7
	v_mov_b32_e32 v10, s6
	;; [unrolled: 1-line block ×4, first 2 shown]
	global_store_dwordx4 v[8:9], v[10:13], off offset:8
.LBB8_141:
	s_or_b64 exec, exec, s[10:11]
	s_lshl_b64 s[6:7], s[8:9], 12
	v_mov_b32_e32 v3, s7
	v_add_co_u32_e32 v10, vcc, s6, v6
	v_addc_co_u32_e32 v11, vcc, v7, v3, vcc
	s_movk_i32 s6, 0xff1f
	v_and_or_b32 v0, v0, s6, 32
	s_mov_b32 s8, 0
	v_mov_b32_e32 v3, v2
	v_readfirstlane_b32 s6, v10
	v_readfirstlane_b32 s7, v11
	v_add_co_u32_e32 v6, vcc, v10, v31
	s_mov_b32 s9, s8
	s_mov_b32 s10, s8
	;; [unrolled: 1-line block ×3, first 2 shown]
	s_nop 0
	global_store_dwordx4 v31, v[0:3], s[6:7]
	v_addc_co_u32_e32 v7, vcc, 0, v11, vcc
	v_mov_b32_e32 v0, s8
	v_mov_b32_e32 v1, s9
	;; [unrolled: 1-line block ×4, first 2 shown]
	global_store_dwordx4 v31, v[0:3], s[6:7] offset:16
	global_store_dwordx4 v31, v[0:3], s[6:7] offset:32
	;; [unrolled: 1-line block ×3, first 2 shown]
	s_and_saveexec_b64 s[6:7], s[0:1]
	s_cbranch_execz .LBB8_149
; %bb.142:
	v_mov_b32_e32 v10, 0
	global_load_dwordx2 v[13:14], v10, s[2:3] offset:32 glc
	global_load_dwordx2 v[0:1], v10, s[2:3] offset:40
	v_mov_b32_e32 v11, s4
	v_mov_b32_e32 v12, s5
	s_waitcnt vmcnt(0)
	v_readfirstlane_b32 s8, v0
	v_readfirstlane_b32 s9, v1
	s_and_b64 s[8:9], s[8:9], s[4:5]
	s_mul_i32 s9, s9, 24
	s_mul_hi_u32 s10, s8, 24
	s_mul_i32 s8, s8, 24
	s_add_i32 s9, s10, s9
	v_mov_b32_e32 v0, s9
	v_add_co_u32_e32 v4, vcc, s8, v4
	v_addc_co_u32_e32 v5, vcc, v5, v0, vcc
	global_store_dwordx2 v[4:5], v[13:14], off
	s_waitcnt vmcnt(0)
	global_atomic_cmpswap_x2 v[2:3], v10, v[11:14], s[2:3] offset:32 glc
	s_waitcnt vmcnt(0)
	v_cmp_ne_u64_e32 vcc, v[2:3], v[13:14]
	s_and_saveexec_b64 s[8:9], vcc
	s_cbranch_execz .LBB8_145
; %bb.143:
	s_mov_b64 s[10:11], 0
.LBB8_144:                              ; =>This Inner Loop Header: Depth=1
	s_sleep 1
	global_store_dwordx2 v[4:5], v[2:3], off
	v_mov_b32_e32 v0, s4
	v_mov_b32_e32 v1, s5
	s_waitcnt vmcnt(0)
	global_atomic_cmpswap_x2 v[0:1], v10, v[0:3], s[2:3] offset:32 glc
	s_waitcnt vmcnt(0)
	v_cmp_eq_u64_e32 vcc, v[0:1], v[2:3]
	v_mov_b32_e32 v3, v1
	s_or_b64 s[10:11], vcc, s[10:11]
	v_mov_b32_e32 v2, v0
	s_andn2_b64 exec, exec, s[10:11]
	s_cbranch_execnz .LBB8_144
.LBB8_145:
	s_or_b64 exec, exec, s[8:9]
	v_mov_b32_e32 v3, 0
	global_load_dwordx2 v[0:1], v3, s[2:3] offset:16
	s_mov_b64 s[8:9], exec
	v_mbcnt_lo_u32_b32 v2, s8, 0
	v_mbcnt_hi_u32_b32 v2, s9, v2
	v_cmp_eq_u32_e32 vcc, 0, v2
	s_and_saveexec_b64 s[10:11], vcc
	s_cbranch_execz .LBB8_147
; %bb.146:
	s_bcnt1_i32_b64 s8, s[8:9]
	v_mov_b32_e32 v2, s8
	s_waitcnt vmcnt(0)
	global_atomic_add_x2 v[0:1], v[2:3], off offset:8
.LBB8_147:
	s_or_b64 exec, exec, s[10:11]
	s_waitcnt vmcnt(0)
	global_load_dwordx2 v[2:3], v[0:1], off offset:16
	s_waitcnt vmcnt(0)
	v_cmp_eq_u64_e32 vcc, 0, v[2:3]
	s_cbranch_vccnz .LBB8_149
; %bb.148:
	global_load_dword v0, v[0:1], off offset:24
	v_mov_b32_e32 v1, 0
	s_waitcnt vmcnt(0)
	v_readfirstlane_b32 s8, v0
	s_and_b32 m0, s8, 0xffffff
	global_store_dwordx2 v[2:3], v[0:1], off
	s_sendmsg sendmsg(MSG_INTERRUPT)
.LBB8_149:
	s_or_b64 exec, exec, s[6:7]
	s_branch .LBB8_153
.LBB8_150:                              ;   in Loop: Header=BB8_153 Depth=1
	s_or_b64 exec, exec, s[6:7]
	v_readfirstlane_b32 s6, v0
	s_cmp_eq_u32 s6, 0
	s_cbranch_scc1 .LBB8_152
; %bb.151:                              ;   in Loop: Header=BB8_153 Depth=1
	s_sleep 1
	s_cbranch_execnz .LBB8_153
	s_branch .LBB8_155
.LBB8_152:
	s_branch .LBB8_155
.LBB8_153:                              ; =>This Inner Loop Header: Depth=1
	v_mov_b32_e32 v0, 1
	s_and_saveexec_b64 s[6:7], s[0:1]
	s_cbranch_execz .LBB8_150
; %bb.154:                              ;   in Loop: Header=BB8_153 Depth=1
	global_load_dword v0, v[8:9], off offset:20 glc
	s_waitcnt vmcnt(0)
	buffer_wbinvl1_vol
	v_and_b32_e32 v0, 1, v0
	s_branch .LBB8_150
.LBB8_155:
	global_load_dwordx2 v[4:5], v[6:7], off
	s_and_saveexec_b64 s[6:7], s[0:1]
	s_cbranch_execz .LBB8_158
; %bb.156:
	v_mov_b32_e32 v8, 0
	global_load_dwordx2 v[0:1], v8, s[2:3] offset:40
	global_load_dwordx2 v[11:12], v8, s[2:3] offset:24 glc
	global_load_dwordx2 v[2:3], v8, s[2:3]
	s_waitcnt vmcnt(2)
	v_readfirstlane_b32 s8, v0
	v_readfirstlane_b32 s9, v1
	s_add_u32 s10, s8, 1
	s_addc_u32 s11, s9, 0
	s_add_u32 s0, s10, s4
	s_addc_u32 s1, s11, s5
	s_cmp_eq_u64 s[0:1], 0
	s_cselect_b32 s1, s11, s1
	s_cselect_b32 s0, s10, s0
	s_and_b64 s[4:5], s[0:1], s[8:9]
	s_mul_i32 s5, s5, 24
	s_mul_hi_u32 s8, s4, 24
	s_mul_i32 s4, s4, 24
	s_add_i32 s5, s8, s5
	v_mov_b32_e32 v0, s5
	s_waitcnt vmcnt(0)
	v_add_co_u32_e32 v6, vcc, s4, v2
	v_addc_co_u32_e32 v7, vcc, v3, v0, vcc
	v_mov_b32_e32 v9, s0
	global_store_dwordx2 v[6:7], v[11:12], off
	v_mov_b32_e32 v10, s1
	s_waitcnt vmcnt(0)
	global_atomic_cmpswap_x2 v[2:3], v8, v[9:12], s[2:3] offset:24 glc
	s_mov_b64 s[4:5], 0
	s_waitcnt vmcnt(0)
	v_cmp_ne_u64_e32 vcc, v[2:3], v[11:12]
	s_and_b64 exec, exec, vcc
	s_cbranch_execz .LBB8_158
.LBB8_157:                              ; =>This Inner Loop Header: Depth=1
	s_sleep 1
	global_store_dwordx2 v[6:7], v[2:3], off
	v_mov_b32_e32 v0, s0
	v_mov_b32_e32 v1, s1
	s_waitcnt vmcnt(0)
	global_atomic_cmpswap_x2 v[0:1], v8, v[0:3], s[2:3] offset:24 glc
	s_waitcnt vmcnt(0)
	v_cmp_eq_u64_e32 vcc, v[0:1], v[2:3]
	v_mov_b32_e32 v3, v1
	s_or_b64 s[4:5], vcc, s[4:5]
	v_mov_b32_e32 v2, v0
	s_andn2_b64 exec, exec, s[4:5]
	s_cbranch_execnz .LBB8_157
.LBB8_158:
	s_or_b64 exec, exec, s[6:7]
.LBB8_159:
	s_getpc_b64 s[4:5]
	s_add_u32 s4, s4, .str.1@rel32@lo+4
	s_addc_u32 s5, s5, .str.1@rel32@hi+12
	s_cmp_lg_u64 s[4:5], 0
	s_cbranch_scc0 .LBB8_244
; %bb.160:
	s_waitcnt vmcnt(0)
	v_and_b32_e32 v29, 2, v4
	v_mov_b32_e32 v26, 0
	v_and_b32_e32 v0, -3, v4
	v_mov_b32_e32 v1, v5
	s_mov_b64 s[6:7], 0x61
	v_mov_b32_e32 v8, 2
	v_mov_b32_e32 v9, 1
	s_branch .LBB8_162
.LBB8_161:                              ;   in Loop: Header=BB8_162 Depth=1
	s_or_b64 exec, exec, s[12:13]
	s_sub_u32 s6, s6, s8
	s_subb_u32 s7, s7, s9
	s_add_u32 s4, s4, s8
	s_addc_u32 s5, s5, s9
	s_cmp_lg_u64 s[6:7], 0
	s_cbranch_scc0 .LBB8_245
.LBB8_162:                              ; =>This Loop Header: Depth=1
                                        ;     Child Loop BB8_165 Depth 2
                                        ;     Child Loop BB8_173 Depth 2
	;; [unrolled: 1-line block ×11, first 2 shown]
	v_cmp_lt_u64_e64 s[0:1], s[6:7], 56
	v_cmp_gt_u64_e64 s[10:11], s[6:7], 7
	s_and_b64 s[0:1], s[0:1], exec
	s_cselect_b32 s9, s7, 0
	s_cselect_b32 s8, s6, 56
	s_add_u32 s0, s4, 8
	s_addc_u32 s1, s5, 0
	s_and_b64 vcc, exec, s[10:11]
	s_cbranch_vccnz .LBB8_166
; %bb.163:                              ;   in Loop: Header=BB8_162 Depth=1
	s_cmp_eq_u64 s[6:7], 0
	s_cbranch_scc1 .LBB8_167
; %bb.164:                              ;   in Loop: Header=BB8_162 Depth=1
	v_mov_b32_e32 v2, 0
	s_lshl_b64 s[0:1], s[8:9], 3
	s_mov_b64 s[10:11], 0
	v_mov_b32_e32 v3, 0
	s_mov_b64 s[12:13], s[4:5]
.LBB8_165:                              ;   Parent Loop BB8_162 Depth=1
                                        ; =>  This Inner Loop Header: Depth=2
	global_load_ubyte v6, v26, s[12:13]
	s_waitcnt vmcnt(0)
	v_and_b32_e32 v25, 0xffff, v6
	v_lshlrev_b64 v[6:7], s10, v[25:26]
	s_add_u32 s10, s10, 8
	s_addc_u32 s11, s11, 0
	s_add_u32 s12, s12, 1
	s_addc_u32 s13, s13, 0
	v_or_b32_e32 v2, v6, v2
	s_cmp_lg_u32 s0, s10
	v_or_b32_e32 v3, v7, v3
	s_cbranch_scc1 .LBB8_165
	s_branch .LBB8_168
.LBB8_166:                              ;   in Loop: Header=BB8_162 Depth=1
	s_mov_b32 s14, 0
	s_branch .LBB8_169
.LBB8_167:                              ;   in Loop: Header=BB8_162 Depth=1
	v_mov_b32_e32 v2, 0
	v_mov_b32_e32 v3, 0
.LBB8_168:                              ;   in Loop: Header=BB8_162 Depth=1
	s_mov_b64 s[0:1], s[4:5]
	s_mov_b32 s14, 0
	s_cbranch_execnz .LBB8_170
.LBB8_169:                              ;   in Loop: Header=BB8_162 Depth=1
	global_load_dwordx2 v[2:3], v26, s[4:5]
	s_add_i32 s14, s8, -8
.LBB8_170:                              ;   in Loop: Header=BB8_162 Depth=1
	s_add_u32 s10, s0, 8
	s_addc_u32 s11, s1, 0
	s_cmp_gt_u32 s14, 7
	s_cbranch_scc1 .LBB8_174
; %bb.171:                              ;   in Loop: Header=BB8_162 Depth=1
	s_cmp_eq_u32 s14, 0
	s_cbranch_scc1 .LBB8_175
; %bb.172:                              ;   in Loop: Header=BB8_162 Depth=1
	v_mov_b32_e32 v10, 0
	s_mov_b64 s[10:11], 0
	v_mov_b32_e32 v11, 0
	s_mov_b64 s[12:13], 0
.LBB8_173:                              ;   Parent Loop BB8_162 Depth=1
                                        ; =>  This Inner Loop Header: Depth=2
	s_add_u32 s16, s0, s12
	s_addc_u32 s17, s1, s13
	global_load_ubyte v6, v26, s[16:17]
	s_add_u32 s12, s12, 1
	s_addc_u32 s13, s13, 0
	s_waitcnt vmcnt(0)
	v_and_b32_e32 v25, 0xffff, v6
	v_lshlrev_b64 v[6:7], s10, v[25:26]
	s_add_u32 s10, s10, 8
	s_addc_u32 s11, s11, 0
	v_or_b32_e32 v10, v6, v10
	s_cmp_lg_u32 s14, s12
	v_or_b32_e32 v11, v7, v11
	s_cbranch_scc1 .LBB8_173
	s_branch .LBB8_176
.LBB8_174:                              ;   in Loop: Header=BB8_162 Depth=1
                                        ; implicit-def: $vgpr10_vgpr11
	s_mov_b32 s15, 0
	s_branch .LBB8_177
.LBB8_175:                              ;   in Loop: Header=BB8_162 Depth=1
	v_mov_b32_e32 v10, 0
	v_mov_b32_e32 v11, 0
.LBB8_176:                              ;   in Loop: Header=BB8_162 Depth=1
	s_mov_b64 s[10:11], s[0:1]
	s_mov_b32 s15, 0
	s_cbranch_execnz .LBB8_178
.LBB8_177:                              ;   in Loop: Header=BB8_162 Depth=1
	global_load_dwordx2 v[10:11], v26, s[0:1]
	s_add_i32 s15, s14, -8
.LBB8_178:                              ;   in Loop: Header=BB8_162 Depth=1
	s_add_u32 s0, s10, 8
	s_addc_u32 s1, s11, 0
	s_cmp_gt_u32 s15, 7
	s_cbranch_scc1 .LBB8_182
; %bb.179:                              ;   in Loop: Header=BB8_162 Depth=1
	s_cmp_eq_u32 s15, 0
	s_cbranch_scc1 .LBB8_183
; %bb.180:                              ;   in Loop: Header=BB8_162 Depth=1
	v_mov_b32_e32 v12, 0
	s_mov_b64 s[0:1], 0
	v_mov_b32_e32 v13, 0
	s_mov_b64 s[12:13], 0
.LBB8_181:                              ;   Parent Loop BB8_162 Depth=1
                                        ; =>  This Inner Loop Header: Depth=2
	s_add_u32 s16, s10, s12
	s_addc_u32 s17, s11, s13
	global_load_ubyte v6, v26, s[16:17]
	s_add_u32 s12, s12, 1
	s_addc_u32 s13, s13, 0
	s_waitcnt vmcnt(0)
	v_and_b32_e32 v25, 0xffff, v6
	v_lshlrev_b64 v[6:7], s0, v[25:26]
	s_add_u32 s0, s0, 8
	s_addc_u32 s1, s1, 0
	v_or_b32_e32 v12, v6, v12
	s_cmp_lg_u32 s15, s12
	v_or_b32_e32 v13, v7, v13
	s_cbranch_scc1 .LBB8_181
	s_branch .LBB8_184
.LBB8_182:                              ;   in Loop: Header=BB8_162 Depth=1
	s_mov_b32 s14, 0
	s_branch .LBB8_185
.LBB8_183:                              ;   in Loop: Header=BB8_162 Depth=1
	v_mov_b32_e32 v12, 0
	v_mov_b32_e32 v13, 0
.LBB8_184:                              ;   in Loop: Header=BB8_162 Depth=1
	s_mov_b64 s[0:1], s[10:11]
	s_mov_b32 s14, 0
	s_cbranch_execnz .LBB8_186
.LBB8_185:                              ;   in Loop: Header=BB8_162 Depth=1
	global_load_dwordx2 v[12:13], v26, s[10:11]
	s_add_i32 s14, s15, -8
.LBB8_186:                              ;   in Loop: Header=BB8_162 Depth=1
	s_add_u32 s10, s0, 8
	s_addc_u32 s11, s1, 0
	s_cmp_gt_u32 s14, 7
	s_cbranch_scc1 .LBB8_190
; %bb.187:                              ;   in Loop: Header=BB8_162 Depth=1
	s_cmp_eq_u32 s14, 0
	s_cbranch_scc1 .LBB8_191
; %bb.188:                              ;   in Loop: Header=BB8_162 Depth=1
	v_mov_b32_e32 v14, 0
	s_mov_b64 s[10:11], 0
	v_mov_b32_e32 v15, 0
	s_mov_b64 s[12:13], 0
.LBB8_189:                              ;   Parent Loop BB8_162 Depth=1
                                        ; =>  This Inner Loop Header: Depth=2
	s_add_u32 s16, s0, s12
	s_addc_u32 s17, s1, s13
	global_load_ubyte v6, v26, s[16:17]
	s_add_u32 s12, s12, 1
	s_addc_u32 s13, s13, 0
	s_waitcnt vmcnt(0)
	v_and_b32_e32 v25, 0xffff, v6
	v_lshlrev_b64 v[6:7], s10, v[25:26]
	s_add_u32 s10, s10, 8
	s_addc_u32 s11, s11, 0
	v_or_b32_e32 v14, v6, v14
	s_cmp_lg_u32 s14, s12
	v_or_b32_e32 v15, v7, v15
	s_cbranch_scc1 .LBB8_189
	s_branch .LBB8_192
.LBB8_190:                              ;   in Loop: Header=BB8_162 Depth=1
                                        ; implicit-def: $vgpr14_vgpr15
	s_mov_b32 s15, 0
	s_branch .LBB8_193
.LBB8_191:                              ;   in Loop: Header=BB8_162 Depth=1
	v_mov_b32_e32 v14, 0
	v_mov_b32_e32 v15, 0
.LBB8_192:                              ;   in Loop: Header=BB8_162 Depth=1
	s_mov_b64 s[10:11], s[0:1]
	s_mov_b32 s15, 0
	s_cbranch_execnz .LBB8_194
.LBB8_193:                              ;   in Loop: Header=BB8_162 Depth=1
	global_load_dwordx2 v[14:15], v26, s[0:1]
	s_add_i32 s15, s14, -8
.LBB8_194:                              ;   in Loop: Header=BB8_162 Depth=1
	s_add_u32 s0, s10, 8
	s_addc_u32 s1, s11, 0
	s_cmp_gt_u32 s15, 7
	s_cbranch_scc1 .LBB8_198
; %bb.195:                              ;   in Loop: Header=BB8_162 Depth=1
	s_cmp_eq_u32 s15, 0
	s_cbranch_scc1 .LBB8_199
; %bb.196:                              ;   in Loop: Header=BB8_162 Depth=1
	v_mov_b32_e32 v16, 0
	s_mov_b64 s[0:1], 0
	v_mov_b32_e32 v17, 0
	s_mov_b64 s[12:13], 0
.LBB8_197:                              ;   Parent Loop BB8_162 Depth=1
                                        ; =>  This Inner Loop Header: Depth=2
	s_add_u32 s16, s10, s12
	s_addc_u32 s17, s11, s13
	global_load_ubyte v6, v26, s[16:17]
	s_add_u32 s12, s12, 1
	s_addc_u32 s13, s13, 0
	s_waitcnt vmcnt(0)
	v_and_b32_e32 v25, 0xffff, v6
	v_lshlrev_b64 v[6:7], s0, v[25:26]
	s_add_u32 s0, s0, 8
	s_addc_u32 s1, s1, 0
	v_or_b32_e32 v16, v6, v16
	s_cmp_lg_u32 s15, s12
	v_or_b32_e32 v17, v7, v17
	s_cbranch_scc1 .LBB8_197
	s_branch .LBB8_200
.LBB8_198:                              ;   in Loop: Header=BB8_162 Depth=1
	s_mov_b32 s14, 0
	s_branch .LBB8_201
.LBB8_199:                              ;   in Loop: Header=BB8_162 Depth=1
	v_mov_b32_e32 v16, 0
	v_mov_b32_e32 v17, 0
.LBB8_200:                              ;   in Loop: Header=BB8_162 Depth=1
	s_mov_b64 s[0:1], s[10:11]
	s_mov_b32 s14, 0
	s_cbranch_execnz .LBB8_202
.LBB8_201:                              ;   in Loop: Header=BB8_162 Depth=1
	global_load_dwordx2 v[16:17], v26, s[10:11]
	s_add_i32 s14, s15, -8
.LBB8_202:                              ;   in Loop: Header=BB8_162 Depth=1
	s_add_u32 s10, s0, 8
	s_addc_u32 s11, s1, 0
	s_cmp_gt_u32 s14, 7
	s_cbranch_scc1 .LBB8_206
; %bb.203:                              ;   in Loop: Header=BB8_162 Depth=1
	s_cmp_eq_u32 s14, 0
	s_cbranch_scc1 .LBB8_207
; %bb.204:                              ;   in Loop: Header=BB8_162 Depth=1
	v_mov_b32_e32 v18, 0
	s_mov_b64 s[10:11], 0
	v_mov_b32_e32 v19, 0
	s_mov_b64 s[12:13], 0
.LBB8_205:                              ;   Parent Loop BB8_162 Depth=1
                                        ; =>  This Inner Loop Header: Depth=2
	s_add_u32 s16, s0, s12
	s_addc_u32 s17, s1, s13
	global_load_ubyte v6, v26, s[16:17]
	s_add_u32 s12, s12, 1
	s_addc_u32 s13, s13, 0
	s_waitcnt vmcnt(0)
	v_and_b32_e32 v25, 0xffff, v6
	v_lshlrev_b64 v[6:7], s10, v[25:26]
	s_add_u32 s10, s10, 8
	s_addc_u32 s11, s11, 0
	v_or_b32_e32 v18, v6, v18
	s_cmp_lg_u32 s14, s12
	v_or_b32_e32 v19, v7, v19
	s_cbranch_scc1 .LBB8_205
	s_branch .LBB8_208
.LBB8_206:                              ;   in Loop: Header=BB8_162 Depth=1
                                        ; implicit-def: $vgpr18_vgpr19
	s_mov_b32 s15, 0
	s_branch .LBB8_209
.LBB8_207:                              ;   in Loop: Header=BB8_162 Depth=1
	v_mov_b32_e32 v18, 0
	v_mov_b32_e32 v19, 0
.LBB8_208:                              ;   in Loop: Header=BB8_162 Depth=1
	s_mov_b64 s[10:11], s[0:1]
	s_mov_b32 s15, 0
	s_cbranch_execnz .LBB8_210
.LBB8_209:                              ;   in Loop: Header=BB8_162 Depth=1
	global_load_dwordx2 v[18:19], v26, s[0:1]
	s_add_i32 s15, s14, -8
.LBB8_210:                              ;   in Loop: Header=BB8_162 Depth=1
	s_cmp_gt_u32 s15, 7
	s_cbranch_scc1 .LBB8_214
; %bb.211:                              ;   in Loop: Header=BB8_162 Depth=1
	s_cmp_eq_u32 s15, 0
	s_cbranch_scc1 .LBB8_215
; %bb.212:                              ;   in Loop: Header=BB8_162 Depth=1
	v_mov_b32_e32 v20, 0
	s_mov_b64 s[0:1], 0
	v_mov_b32_e32 v21, 0
	s_mov_b64 s[12:13], s[10:11]
.LBB8_213:                              ;   Parent Loop BB8_162 Depth=1
                                        ; =>  This Inner Loop Header: Depth=2
	global_load_ubyte v6, v26, s[12:13]
	s_add_i32 s15, s15, -1
	s_waitcnt vmcnt(0)
	v_and_b32_e32 v25, 0xffff, v6
	v_lshlrev_b64 v[6:7], s0, v[25:26]
	s_add_u32 s0, s0, 8
	s_addc_u32 s1, s1, 0
	s_add_u32 s12, s12, 1
	s_addc_u32 s13, s13, 0
	v_or_b32_e32 v20, v6, v20
	s_cmp_lg_u32 s15, 0
	v_or_b32_e32 v21, v7, v21
	s_cbranch_scc1 .LBB8_213
	s_branch .LBB8_216
.LBB8_214:                              ;   in Loop: Header=BB8_162 Depth=1
	s_branch .LBB8_217
.LBB8_215:                              ;   in Loop: Header=BB8_162 Depth=1
	v_mov_b32_e32 v20, 0
	v_mov_b32_e32 v21, 0
.LBB8_216:                              ;   in Loop: Header=BB8_162 Depth=1
	s_cbranch_execnz .LBB8_218
.LBB8_217:                              ;   in Loop: Header=BB8_162 Depth=1
	global_load_dwordx2 v[20:21], v26, s[10:11]
.LBB8_218:                              ;   in Loop: Header=BB8_162 Depth=1
	v_readfirstlane_b32 s0, v32
	v_mov_b32_e32 v6, 0
	v_mov_b32_e32 v7, 0
	v_cmp_eq_u32_e64 s[0:1], s0, v32
	s_and_saveexec_b64 s[10:11], s[0:1]
	s_cbranch_execz .LBB8_224
; %bb.219:                              ;   in Loop: Header=BB8_162 Depth=1
	global_load_dwordx2 v[24:25], v26, s[2:3] offset:24 glc
	s_waitcnt vmcnt(0)
	buffer_wbinvl1_vol
	global_load_dwordx2 v[6:7], v26, s[2:3] offset:40
	global_load_dwordx2 v[22:23], v26, s[2:3]
	s_waitcnt vmcnt(1)
	v_and_b32_e32 v6, v6, v24
	v_and_b32_e32 v7, v7, v25
	v_mul_lo_u32 v7, v7, 24
	v_mul_hi_u32 v27, v6, 24
	v_mul_lo_u32 v6, v6, 24
	v_add_u32_e32 v7, v27, v7
	s_waitcnt vmcnt(0)
	v_add_co_u32_e32 v6, vcc, v22, v6
	v_addc_co_u32_e32 v7, vcc, v23, v7, vcc
	global_load_dwordx2 v[22:23], v[6:7], off glc
	s_waitcnt vmcnt(0)
	global_atomic_cmpswap_x2 v[6:7], v26, v[22:25], s[2:3] offset:24 glc
	s_waitcnt vmcnt(0)
	buffer_wbinvl1_vol
	v_cmp_ne_u64_e32 vcc, v[6:7], v[24:25]
	s_and_saveexec_b64 s[12:13], vcc
	s_cbranch_execz .LBB8_223
; %bb.220:                              ;   in Loop: Header=BB8_162 Depth=1
	s_mov_b64 s[14:15], 0
.LBB8_221:                              ;   Parent Loop BB8_162 Depth=1
                                        ; =>  This Inner Loop Header: Depth=2
	s_sleep 1
	global_load_dwordx2 v[22:23], v26, s[2:3] offset:40
	global_load_dwordx2 v[27:28], v26, s[2:3]
	v_mov_b32_e32 v25, v7
	v_mov_b32_e32 v24, v6
	s_waitcnt vmcnt(1)
	v_and_b32_e32 v6, v22, v24
	s_waitcnt vmcnt(0)
	v_mad_u64_u32 v[6:7], s[16:17], v6, 24, v[27:28]
	v_and_b32_e32 v22, v23, v25
	v_mad_u64_u32 v[22:23], s[16:17], v22, 24, v[7:8]
	v_mov_b32_e32 v7, v22
	global_load_dwordx2 v[22:23], v[6:7], off glc
	s_waitcnt vmcnt(0)
	global_atomic_cmpswap_x2 v[6:7], v26, v[22:25], s[2:3] offset:24 glc
	s_waitcnt vmcnt(0)
	buffer_wbinvl1_vol
	v_cmp_eq_u64_e32 vcc, v[6:7], v[24:25]
	s_or_b64 s[14:15], vcc, s[14:15]
	s_andn2_b64 exec, exec, s[14:15]
	s_cbranch_execnz .LBB8_221
; %bb.222:                              ;   in Loop: Header=BB8_162 Depth=1
	s_or_b64 exec, exec, s[14:15]
.LBB8_223:                              ;   in Loop: Header=BB8_162 Depth=1
	s_or_b64 exec, exec, s[12:13]
.LBB8_224:                              ;   in Loop: Header=BB8_162 Depth=1
	s_or_b64 exec, exec, s[10:11]
	global_load_dwordx2 v[27:28], v26, s[2:3] offset:40
	global_load_dwordx4 v[22:25], v26, s[2:3]
	v_readfirstlane_b32 s11, v7
	v_readfirstlane_b32 s10, v6
	s_mov_b64 s[12:13], exec
	s_waitcnt vmcnt(1)
	v_readfirstlane_b32 s14, v27
	v_readfirstlane_b32 s15, v28
	s_and_b64 s[14:15], s[14:15], s[10:11]
	s_mul_i32 s16, s15, 24
	s_mul_hi_u32 s17, s14, 24
	s_mul_i32 s18, s14, 24
	s_add_i32 s16, s17, s16
	v_mov_b32_e32 v6, s16
	s_waitcnt vmcnt(0)
	v_add_co_u32_e32 v27, vcc, s18, v22
	v_addc_co_u32_e32 v28, vcc, v23, v6, vcc
	s_and_saveexec_b64 s[16:17], s[0:1]
	s_cbranch_execz .LBB8_226
; %bb.225:                              ;   in Loop: Header=BB8_162 Depth=1
	v_mov_b32_e32 v6, s12
	v_mov_b32_e32 v7, s13
	global_store_dwordx4 v[27:28], v[6:9], off offset:8
.LBB8_226:                              ;   in Loop: Header=BB8_162 Depth=1
	s_or_b64 exec, exec, s[16:17]
	s_lshl_b64 s[12:13], s[14:15], 12
	v_mov_b32_e32 v6, s13
	v_add_co_u32_e32 v24, vcc, s12, v24
	v_addc_co_u32_e32 v30, vcc, v25, v6, vcc
	v_cmp_lt_u64_e64 vcc, s[6:7], 57
	s_lshl_b32 s12, s8, 2
	v_cndmask_b32_e32 v6, 0, v29, vcc
	s_add_i32 s12, s12, 28
	v_and_b32_e32 v0, 0xffffff1f, v0
	s_and_b32 s12, s12, 0x1e0
	v_or_b32_e32 v0, v0, v6
	v_or_b32_e32 v0, s12, v0
	v_readfirstlane_b32 s12, v24
	v_readfirstlane_b32 s13, v30
	s_nop 4
	global_store_dwordx4 v31, v[0:3], s[12:13]
	global_store_dwordx4 v31, v[10:13], s[12:13] offset:16
	global_store_dwordx4 v31, v[14:17], s[12:13] offset:32
	global_store_dwordx4 v31, v[18:21], s[12:13] offset:48
	s_and_saveexec_b64 s[12:13], s[0:1]
	s_cbranch_execz .LBB8_234
; %bb.227:                              ;   in Loop: Header=BB8_162 Depth=1
	global_load_dwordx2 v[12:13], v26, s[2:3] offset:32 glc
	global_load_dwordx2 v[0:1], v26, s[2:3] offset:40
	v_mov_b32_e32 v10, s10
	v_mov_b32_e32 v11, s11
	s_waitcnt vmcnt(0)
	v_readfirstlane_b32 s14, v0
	v_readfirstlane_b32 s15, v1
	s_and_b64 s[14:15], s[14:15], s[10:11]
	s_mul_i32 s15, s15, 24
	s_mul_hi_u32 s16, s14, 24
	s_mul_i32 s14, s14, 24
	s_add_i32 s15, s16, s15
	v_mov_b32_e32 v0, s15
	v_add_co_u32_e32 v6, vcc, s14, v22
	v_addc_co_u32_e32 v7, vcc, v23, v0, vcc
	global_store_dwordx2 v[6:7], v[12:13], off
	s_waitcnt vmcnt(0)
	global_atomic_cmpswap_x2 v[2:3], v26, v[10:13], s[2:3] offset:32 glc
	s_waitcnt vmcnt(0)
	v_cmp_ne_u64_e32 vcc, v[2:3], v[12:13]
	s_and_saveexec_b64 s[14:15], vcc
	s_cbranch_execz .LBB8_230
; %bb.228:                              ;   in Loop: Header=BB8_162 Depth=1
	s_mov_b64 s[16:17], 0
.LBB8_229:                              ;   Parent Loop BB8_162 Depth=1
                                        ; =>  This Inner Loop Header: Depth=2
	s_sleep 1
	global_store_dwordx2 v[6:7], v[2:3], off
	v_mov_b32_e32 v0, s10
	v_mov_b32_e32 v1, s11
	s_waitcnt vmcnt(0)
	global_atomic_cmpswap_x2 v[0:1], v26, v[0:3], s[2:3] offset:32 glc
	s_waitcnt vmcnt(0)
	v_cmp_eq_u64_e32 vcc, v[0:1], v[2:3]
	v_mov_b32_e32 v3, v1
	s_or_b64 s[16:17], vcc, s[16:17]
	v_mov_b32_e32 v2, v0
	s_andn2_b64 exec, exec, s[16:17]
	s_cbranch_execnz .LBB8_229
.LBB8_230:                              ;   in Loop: Header=BB8_162 Depth=1
	s_or_b64 exec, exec, s[14:15]
	global_load_dwordx2 v[0:1], v26, s[2:3] offset:16
	s_mov_b64 s[16:17], exec
	v_mbcnt_lo_u32_b32 v2, s16, 0
	v_mbcnt_hi_u32_b32 v2, s17, v2
	v_cmp_eq_u32_e32 vcc, 0, v2
	s_and_saveexec_b64 s[14:15], vcc
	s_cbranch_execz .LBB8_232
; %bb.231:                              ;   in Loop: Header=BB8_162 Depth=1
	s_bcnt1_i32_b64 s16, s[16:17]
	v_mov_b32_e32 v25, s16
	s_waitcnt vmcnt(0)
	global_atomic_add_x2 v[0:1], v[25:26], off offset:8
.LBB8_232:                              ;   in Loop: Header=BB8_162 Depth=1
	s_or_b64 exec, exec, s[14:15]
	s_waitcnt vmcnt(0)
	global_load_dwordx2 v[2:3], v[0:1], off offset:16
	s_waitcnt vmcnt(0)
	v_cmp_eq_u64_e32 vcc, 0, v[2:3]
	s_cbranch_vccnz .LBB8_234
; %bb.233:                              ;   in Loop: Header=BB8_162 Depth=1
	global_load_dword v25, v[0:1], off offset:24
	s_waitcnt vmcnt(0)
	v_readfirstlane_b32 s14, v25
	s_and_b32 m0, s14, 0xffffff
	global_store_dwordx2 v[2:3], v[25:26], off
	s_sendmsg sendmsg(MSG_INTERRUPT)
.LBB8_234:                              ;   in Loop: Header=BB8_162 Depth=1
	s_or_b64 exec, exec, s[12:13]
	v_add_co_u32_e32 v0, vcc, v24, v31
	v_addc_co_u32_e32 v1, vcc, 0, v30, vcc
	s_branch .LBB8_238
.LBB8_235:                              ;   in Loop: Header=BB8_238 Depth=2
	s_or_b64 exec, exec, s[12:13]
	v_readfirstlane_b32 s12, v2
	s_cmp_eq_u32 s12, 0
	s_cbranch_scc1 .LBB8_237
; %bb.236:                              ;   in Loop: Header=BB8_238 Depth=2
	s_sleep 1
	s_cbranch_execnz .LBB8_238
	s_branch .LBB8_240
.LBB8_237:                              ;   in Loop: Header=BB8_162 Depth=1
	s_branch .LBB8_240
.LBB8_238:                              ;   Parent Loop BB8_162 Depth=1
                                        ; =>  This Inner Loop Header: Depth=2
	v_mov_b32_e32 v2, 1
	s_and_saveexec_b64 s[12:13], s[0:1]
	s_cbranch_execz .LBB8_235
; %bb.239:                              ;   in Loop: Header=BB8_238 Depth=2
	global_load_dword v2, v[27:28], off offset:20 glc
	s_waitcnt vmcnt(0)
	buffer_wbinvl1_vol
	v_and_b32_e32 v2, 1, v2
	s_branch .LBB8_235
.LBB8_240:                              ;   in Loop: Header=BB8_162 Depth=1
	global_load_dwordx2 v[0:1], v[0:1], off
	s_and_saveexec_b64 s[12:13], s[0:1]
	s_cbranch_execz .LBB8_161
; %bb.241:                              ;   in Loop: Header=BB8_162 Depth=1
	global_load_dwordx2 v[2:3], v26, s[2:3] offset:40
	global_load_dwordx2 v[14:15], v26, s[2:3] offset:24 glc
	global_load_dwordx2 v[6:7], v26, s[2:3]
	s_waitcnt vmcnt(2)
	v_readfirstlane_b32 s14, v2
	v_readfirstlane_b32 s15, v3
	s_add_u32 s16, s14, 1
	s_addc_u32 s17, s15, 0
	s_add_u32 s0, s16, s10
	s_addc_u32 s1, s17, s11
	s_cmp_eq_u64 s[0:1], 0
	s_cselect_b32 s1, s17, s1
	s_cselect_b32 s0, s16, s0
	s_and_b64 s[10:11], s[0:1], s[14:15]
	s_mul_i32 s11, s11, 24
	s_mul_hi_u32 s14, s10, 24
	s_mul_i32 s10, s10, 24
	s_add_i32 s11, s14, s11
	v_mov_b32_e32 v3, s11
	s_waitcnt vmcnt(0)
	v_add_co_u32_e32 v2, vcc, s10, v6
	v_addc_co_u32_e32 v3, vcc, v7, v3, vcc
	v_mov_b32_e32 v12, s0
	global_store_dwordx2 v[2:3], v[14:15], off
	v_mov_b32_e32 v13, s1
	s_waitcnt vmcnt(0)
	global_atomic_cmpswap_x2 v[12:13], v26, v[12:15], s[2:3] offset:24 glc
	s_waitcnt vmcnt(0)
	v_cmp_ne_u64_e32 vcc, v[12:13], v[14:15]
	s_and_b64 exec, exec, vcc
	s_cbranch_execz .LBB8_161
; %bb.242:                              ;   in Loop: Header=BB8_162 Depth=1
	s_mov_b64 s[10:11], 0
.LBB8_243:                              ;   Parent Loop BB8_162 Depth=1
                                        ; =>  This Inner Loop Header: Depth=2
	s_sleep 1
	global_store_dwordx2 v[2:3], v[12:13], off
	v_mov_b32_e32 v10, s0
	v_mov_b32_e32 v11, s1
	s_waitcnt vmcnt(0)
	global_atomic_cmpswap_x2 v[6:7], v26, v[10:13], s[2:3] offset:24 glc
	s_waitcnt vmcnt(0)
	v_cmp_eq_u64_e32 vcc, v[6:7], v[12:13]
	v_mov_b32_e32 v13, v7
	s_or_b64 s[10:11], vcc, s[10:11]
	v_mov_b32_e32 v12, v6
	s_andn2_b64 exec, exec, s[10:11]
	s_cbranch_execnz .LBB8_243
	s_branch .LBB8_161
.LBB8_244:
	s_mov_b64 s[0:1], -1
                                        ; implicit-def: $vgpr0_vgpr1
	s_branch .LBB8_246
.LBB8_245:
	s_mov_b64 s[0:1], 0
.LBB8_246:
	s_and_b64 vcc, exec, s[0:1]
	s_cbranch_vccz .LBB8_273
; %bb.247:
	v_readfirstlane_b32 s0, v32
	v_mov_b32_e32 v7, 0
	v_mov_b32_e32 v8, 0
	v_cmp_eq_u32_e64 s[0:1], s0, v32
	s_and_saveexec_b64 s[4:5], s[0:1]
	s_cbranch_execz .LBB8_253
; %bb.248:
	s_waitcnt vmcnt(0)
	v_mov_b32_e32 v0, 0
	global_load_dwordx2 v[9:10], v0, s[2:3] offset:24 glc
	s_waitcnt vmcnt(0)
	buffer_wbinvl1_vol
	global_load_dwordx2 v[1:2], v0, s[2:3] offset:40
	global_load_dwordx2 v[6:7], v0, s[2:3]
	s_waitcnt vmcnt(1)
	v_and_b32_e32 v1, v1, v9
	v_and_b32_e32 v2, v2, v10
	v_mul_lo_u32 v2, v2, 24
	v_mul_hi_u32 v3, v1, 24
	v_mul_lo_u32 v1, v1, 24
	v_add_u32_e32 v2, v3, v2
	s_waitcnt vmcnt(0)
	v_add_co_u32_e32 v1, vcc, v6, v1
	v_addc_co_u32_e32 v2, vcc, v7, v2, vcc
	global_load_dwordx2 v[7:8], v[1:2], off glc
	s_waitcnt vmcnt(0)
	global_atomic_cmpswap_x2 v[7:8], v0, v[7:10], s[2:3] offset:24 glc
	s_waitcnt vmcnt(0)
	buffer_wbinvl1_vol
	v_cmp_ne_u64_e32 vcc, v[7:8], v[9:10]
	s_and_saveexec_b64 s[6:7], vcc
	s_cbranch_execz .LBB8_252
; %bb.249:
	s_mov_b64 s[8:9], 0
.LBB8_250:                              ; =>This Inner Loop Header: Depth=1
	s_sleep 1
	global_load_dwordx2 v[1:2], v0, s[2:3] offset:40
	global_load_dwordx2 v[11:12], v0, s[2:3]
	v_mov_b32_e32 v10, v8
	v_mov_b32_e32 v9, v7
	s_waitcnt vmcnt(1)
	v_and_b32_e32 v1, v1, v9
	s_waitcnt vmcnt(0)
	v_mad_u64_u32 v[6:7], s[10:11], v1, 24, v[11:12]
	v_and_b32_e32 v2, v2, v10
	v_mov_b32_e32 v1, v7
	v_mad_u64_u32 v[1:2], s[10:11], v2, 24, v[1:2]
	v_mov_b32_e32 v7, v1
	global_load_dwordx2 v[7:8], v[6:7], off glc
	s_waitcnt vmcnt(0)
	global_atomic_cmpswap_x2 v[7:8], v0, v[7:10], s[2:3] offset:24 glc
	s_waitcnt vmcnt(0)
	buffer_wbinvl1_vol
	v_cmp_eq_u64_e32 vcc, v[7:8], v[9:10]
	s_or_b64 s[8:9], vcc, s[8:9]
	s_andn2_b64 exec, exec, s[8:9]
	s_cbranch_execnz .LBB8_250
; %bb.251:
	s_or_b64 exec, exec, s[8:9]
.LBB8_252:
	s_or_b64 exec, exec, s[6:7]
.LBB8_253:
	s_or_b64 exec, exec, s[4:5]
	v_mov_b32_e32 v6, 0
	global_load_dwordx2 v[9:10], v6, s[2:3] offset:40
	global_load_dwordx4 v[0:3], v6, s[2:3]
	v_readfirstlane_b32 s5, v8
	v_readfirstlane_b32 s4, v7
	s_mov_b64 s[6:7], exec
	s_waitcnt vmcnt(1)
	v_readfirstlane_b32 s8, v9
	v_readfirstlane_b32 s9, v10
	s_and_b64 s[8:9], s[8:9], s[4:5]
	s_mul_i32 s10, s9, 24
	s_mul_hi_u32 s11, s8, 24
	s_mul_i32 s12, s8, 24
	s_add_i32 s10, s11, s10
	v_mov_b32_e32 v7, s10
	s_waitcnt vmcnt(0)
	v_add_co_u32_e32 v8, vcc, s12, v0
	v_addc_co_u32_e32 v9, vcc, v1, v7, vcc
	s_and_saveexec_b64 s[10:11], s[0:1]
	s_cbranch_execz .LBB8_255
; %bb.254:
	v_mov_b32_e32 v11, s7
	v_mov_b32_e32 v10, s6
	;; [unrolled: 1-line block ×4, first 2 shown]
	global_store_dwordx4 v[8:9], v[10:13], off offset:8
.LBB8_255:
	s_or_b64 exec, exec, s[10:11]
	s_lshl_b64 s[6:7], s[8:9], 12
	v_mov_b32_e32 v7, s7
	v_add_co_u32_e32 v2, vcc, s6, v2
	v_addc_co_u32_e32 v3, vcc, v3, v7, vcc
	s_movk_i32 s6, 0xff1f
	v_and_or_b32 v4, v4, s6, 32
	v_add_co_u32_e32 v10, vcc, v2, v31
	s_mov_b32 s8, 0
	v_mov_b32_e32 v7, v6
	v_readfirstlane_b32 s6, v2
	v_readfirstlane_b32 s7, v3
	v_addc_co_u32_e32 v11, vcc, 0, v3, vcc
	s_mov_b32 s9, s8
	s_mov_b32 s10, s8
	;; [unrolled: 1-line block ×3, first 2 shown]
	s_nop 0
	global_store_dwordx4 v31, v[4:7], s[6:7]
	v_mov_b32_e32 v2, s8
	v_mov_b32_e32 v3, s9
	;; [unrolled: 1-line block ×4, first 2 shown]
	global_store_dwordx4 v31, v[2:5], s[6:7] offset:16
	global_store_dwordx4 v31, v[2:5], s[6:7] offset:32
	;; [unrolled: 1-line block ×3, first 2 shown]
	s_and_saveexec_b64 s[6:7], s[0:1]
	s_cbranch_execz .LBB8_263
; %bb.256:
	v_mov_b32_e32 v6, 0
	global_load_dwordx2 v[14:15], v6, s[2:3] offset:32 glc
	global_load_dwordx2 v[2:3], v6, s[2:3] offset:40
	v_mov_b32_e32 v12, s4
	v_mov_b32_e32 v13, s5
	s_waitcnt vmcnt(0)
	v_readfirstlane_b32 s8, v2
	v_readfirstlane_b32 s9, v3
	s_and_b64 s[8:9], s[8:9], s[4:5]
	s_mul_i32 s9, s9, 24
	s_mul_hi_u32 s10, s8, 24
	s_mul_i32 s8, s8, 24
	s_add_i32 s9, s10, s9
	v_mov_b32_e32 v2, s9
	v_add_co_u32_e32 v4, vcc, s8, v0
	v_addc_co_u32_e32 v5, vcc, v1, v2, vcc
	global_store_dwordx2 v[4:5], v[14:15], off
	s_waitcnt vmcnt(0)
	global_atomic_cmpswap_x2 v[2:3], v6, v[12:15], s[2:3] offset:32 glc
	s_waitcnt vmcnt(0)
	v_cmp_ne_u64_e32 vcc, v[2:3], v[14:15]
	s_and_saveexec_b64 s[8:9], vcc
	s_cbranch_execz .LBB8_259
; %bb.257:
	s_mov_b64 s[10:11], 0
.LBB8_258:                              ; =>This Inner Loop Header: Depth=1
	s_sleep 1
	global_store_dwordx2 v[4:5], v[2:3], off
	v_mov_b32_e32 v0, s4
	v_mov_b32_e32 v1, s5
	s_waitcnt vmcnt(0)
	global_atomic_cmpswap_x2 v[0:1], v6, v[0:3], s[2:3] offset:32 glc
	s_waitcnt vmcnt(0)
	v_cmp_eq_u64_e32 vcc, v[0:1], v[2:3]
	v_mov_b32_e32 v3, v1
	s_or_b64 s[10:11], vcc, s[10:11]
	v_mov_b32_e32 v2, v0
	s_andn2_b64 exec, exec, s[10:11]
	s_cbranch_execnz .LBB8_258
.LBB8_259:
	s_or_b64 exec, exec, s[8:9]
	v_mov_b32_e32 v3, 0
	global_load_dwordx2 v[0:1], v3, s[2:3] offset:16
	s_mov_b64 s[8:9], exec
	v_mbcnt_lo_u32_b32 v2, s8, 0
	v_mbcnt_hi_u32_b32 v2, s9, v2
	v_cmp_eq_u32_e32 vcc, 0, v2
	s_and_saveexec_b64 s[10:11], vcc
	s_cbranch_execz .LBB8_261
; %bb.260:
	s_bcnt1_i32_b64 s8, s[8:9]
	v_mov_b32_e32 v2, s8
	s_waitcnt vmcnt(0)
	global_atomic_add_x2 v[0:1], v[2:3], off offset:8
.LBB8_261:
	s_or_b64 exec, exec, s[10:11]
	s_waitcnt vmcnt(0)
	global_load_dwordx2 v[2:3], v[0:1], off offset:16
	s_waitcnt vmcnt(0)
	v_cmp_eq_u64_e32 vcc, 0, v[2:3]
	s_cbranch_vccnz .LBB8_263
; %bb.262:
	global_load_dword v0, v[0:1], off offset:24
	v_mov_b32_e32 v1, 0
	s_waitcnt vmcnt(0)
	v_readfirstlane_b32 s8, v0
	s_and_b32 m0, s8, 0xffffff
	global_store_dwordx2 v[2:3], v[0:1], off
	s_sendmsg sendmsg(MSG_INTERRUPT)
.LBB8_263:
	s_or_b64 exec, exec, s[6:7]
	s_branch .LBB8_267
.LBB8_264:                              ;   in Loop: Header=BB8_267 Depth=1
	s_or_b64 exec, exec, s[6:7]
	v_readfirstlane_b32 s6, v0
	s_cmp_eq_u32 s6, 0
	s_cbranch_scc1 .LBB8_266
; %bb.265:                              ;   in Loop: Header=BB8_267 Depth=1
	s_sleep 1
	s_cbranch_execnz .LBB8_267
	s_branch .LBB8_269
.LBB8_266:
	s_branch .LBB8_269
.LBB8_267:                              ; =>This Inner Loop Header: Depth=1
	v_mov_b32_e32 v0, 1
	s_and_saveexec_b64 s[6:7], s[0:1]
	s_cbranch_execz .LBB8_264
; %bb.268:                              ;   in Loop: Header=BB8_267 Depth=1
	global_load_dword v0, v[8:9], off offset:20 glc
	s_waitcnt vmcnt(0)
	buffer_wbinvl1_vol
	v_and_b32_e32 v0, 1, v0
	s_branch .LBB8_264
.LBB8_269:
	global_load_dwordx2 v[0:1], v[10:11], off
	s_and_saveexec_b64 s[6:7], s[0:1]
	s_cbranch_execz .LBB8_272
; %bb.270:
	v_mov_b32_e32 v8, 0
	global_load_dwordx2 v[2:3], v8, s[2:3] offset:40
	global_load_dwordx2 v[11:12], v8, s[2:3] offset:24 glc
	global_load_dwordx2 v[4:5], v8, s[2:3]
	s_waitcnt vmcnt(2)
	v_readfirstlane_b32 s8, v2
	v_readfirstlane_b32 s9, v3
	s_add_u32 s10, s8, 1
	s_addc_u32 s11, s9, 0
	s_add_u32 s0, s10, s4
	s_addc_u32 s1, s11, s5
	s_cmp_eq_u64 s[0:1], 0
	s_cselect_b32 s1, s11, s1
	s_cselect_b32 s0, s10, s0
	s_and_b64 s[4:5], s[0:1], s[8:9]
	s_mul_i32 s5, s5, 24
	s_mul_hi_u32 s8, s4, 24
	s_mul_i32 s4, s4, 24
	s_add_i32 s5, s8, s5
	v_mov_b32_e32 v2, s5
	s_waitcnt vmcnt(0)
	v_add_co_u32_e32 v6, vcc, s4, v4
	v_addc_co_u32_e32 v7, vcc, v5, v2, vcc
	v_mov_b32_e32 v9, s0
	global_store_dwordx2 v[6:7], v[11:12], off
	v_mov_b32_e32 v10, s1
	s_waitcnt vmcnt(0)
	global_atomic_cmpswap_x2 v[4:5], v8, v[9:12], s[2:3] offset:24 glc
	s_mov_b64 s[4:5], 0
	s_waitcnt vmcnt(0)
	v_cmp_ne_u64_e32 vcc, v[4:5], v[11:12]
	s_and_b64 exec, exec, vcc
	s_cbranch_execz .LBB8_272
.LBB8_271:                              ; =>This Inner Loop Header: Depth=1
	s_sleep 1
	global_store_dwordx2 v[6:7], v[4:5], off
	v_mov_b32_e32 v2, s0
	v_mov_b32_e32 v3, s1
	s_waitcnt vmcnt(0)
	global_atomic_cmpswap_x2 v[2:3], v8, v[2:5], s[2:3] offset:24 glc
	s_waitcnt vmcnt(0)
	v_cmp_eq_u64_e32 vcc, v[2:3], v[4:5]
	v_mov_b32_e32 v5, v3
	s_or_b64 s[4:5], vcc, s[4:5]
	v_mov_b32_e32 v4, v2
	s_andn2_b64 exec, exec, s[4:5]
	s_cbranch_execnz .LBB8_271
.LBB8_272:
	s_or_b64 exec, exec, s[6:7]
.LBB8_273:
	s_getpc_b64 s[4:5]
	s_add_u32 s4, s4, __FUNCTION__._ZN9rocsparseL38csr2csr_compress_use_warp_start_deviceILj256ELj32ELj2EfEEvi21rocsparse_index_base_PKT2_PKiS1_PS2_PiPKjS2_@rel32@lo+4
	s_addc_u32 s5, s5, __FUNCTION__._ZN9rocsparseL38csr2csr_compress_use_warp_start_deviceILj256ELj32ELj2EfEEvi21rocsparse_index_base_PKT2_PKiS1_PS2_PiPKjS2_@rel32@hi+12
	s_cmp_lg_u64 s[4:5], 0
	s_cbranch_scc0 .LBB8_358
; %bb.274:
	s_waitcnt vmcnt(0)
	v_and_b32_e32 v29, 2, v0
	v_mov_b32_e32 v26, 0
	v_and_b32_e32 v2, -3, v0
	v_mov_b32_e32 v3, v1
	s_mov_b64 s[6:7], 39
	v_mov_b32_e32 v8, 2
	v_mov_b32_e32 v9, 1
	s_branch .LBB8_276
.LBB8_275:                              ;   in Loop: Header=BB8_276 Depth=1
	s_or_b64 exec, exec, s[12:13]
	s_sub_u32 s6, s6, s8
	s_subb_u32 s7, s7, s9
	s_add_u32 s4, s4, s8
	s_addc_u32 s5, s5, s9
	s_cmp_lg_u64 s[6:7], 0
	s_cbranch_scc0 .LBB8_359
.LBB8_276:                              ; =>This Loop Header: Depth=1
                                        ;     Child Loop BB8_279 Depth 2
                                        ;     Child Loop BB8_287 Depth 2
	;; [unrolled: 1-line block ×11, first 2 shown]
	v_cmp_lt_u64_e64 s[0:1], s[6:7], 56
	v_cmp_gt_u64_e64 s[10:11], s[6:7], 7
	s_and_b64 s[0:1], s[0:1], exec
	s_cselect_b32 s9, s7, 0
	s_cselect_b32 s8, s6, 56
	s_add_u32 s0, s4, 8
	s_addc_u32 s1, s5, 0
	s_and_b64 vcc, exec, s[10:11]
	s_cbranch_vccnz .LBB8_280
; %bb.277:                              ;   in Loop: Header=BB8_276 Depth=1
	s_cmp_eq_u64 s[6:7], 0
	s_cbranch_scc1 .LBB8_281
; %bb.278:                              ;   in Loop: Header=BB8_276 Depth=1
	v_mov_b32_e32 v4, 0
	s_lshl_b64 s[0:1], s[8:9], 3
	s_mov_b64 s[10:11], 0
	v_mov_b32_e32 v5, 0
	s_mov_b64 s[12:13], s[4:5]
.LBB8_279:                              ;   Parent Loop BB8_276 Depth=1
                                        ; =>  This Inner Loop Header: Depth=2
	global_load_ubyte v6, v26, s[12:13]
	s_waitcnt vmcnt(0)
	v_and_b32_e32 v25, 0xffff, v6
	v_lshlrev_b64 v[6:7], s10, v[25:26]
	s_add_u32 s10, s10, 8
	s_addc_u32 s11, s11, 0
	s_add_u32 s12, s12, 1
	s_addc_u32 s13, s13, 0
	v_or_b32_e32 v4, v6, v4
	s_cmp_lg_u32 s0, s10
	v_or_b32_e32 v5, v7, v5
	s_cbranch_scc1 .LBB8_279
	s_branch .LBB8_282
.LBB8_280:                              ;   in Loop: Header=BB8_276 Depth=1
	s_mov_b32 s14, 0
	s_branch .LBB8_283
.LBB8_281:                              ;   in Loop: Header=BB8_276 Depth=1
	v_mov_b32_e32 v4, 0
	v_mov_b32_e32 v5, 0
.LBB8_282:                              ;   in Loop: Header=BB8_276 Depth=1
	s_mov_b64 s[0:1], s[4:5]
	s_mov_b32 s14, 0
	s_cbranch_execnz .LBB8_284
.LBB8_283:                              ;   in Loop: Header=BB8_276 Depth=1
	global_load_dwordx2 v[4:5], v26, s[4:5]
	s_add_i32 s14, s8, -8
.LBB8_284:                              ;   in Loop: Header=BB8_276 Depth=1
	s_add_u32 s10, s0, 8
	s_addc_u32 s11, s1, 0
	s_cmp_gt_u32 s14, 7
	s_cbranch_scc1 .LBB8_288
; %bb.285:                              ;   in Loop: Header=BB8_276 Depth=1
	s_cmp_eq_u32 s14, 0
	s_cbranch_scc1 .LBB8_289
; %bb.286:                              ;   in Loop: Header=BB8_276 Depth=1
	v_mov_b32_e32 v10, 0
	s_mov_b64 s[10:11], 0
	v_mov_b32_e32 v11, 0
	s_mov_b64 s[12:13], 0
.LBB8_287:                              ;   Parent Loop BB8_276 Depth=1
                                        ; =>  This Inner Loop Header: Depth=2
	s_add_u32 s16, s0, s12
	s_addc_u32 s17, s1, s13
	global_load_ubyte v6, v26, s[16:17]
	s_add_u32 s12, s12, 1
	s_addc_u32 s13, s13, 0
	s_waitcnt vmcnt(0)
	v_and_b32_e32 v25, 0xffff, v6
	v_lshlrev_b64 v[6:7], s10, v[25:26]
	s_add_u32 s10, s10, 8
	s_addc_u32 s11, s11, 0
	v_or_b32_e32 v10, v6, v10
	s_cmp_lg_u32 s14, s12
	v_or_b32_e32 v11, v7, v11
	s_cbranch_scc1 .LBB8_287
	s_branch .LBB8_290
.LBB8_288:                              ;   in Loop: Header=BB8_276 Depth=1
                                        ; implicit-def: $vgpr10_vgpr11
	s_mov_b32 s15, 0
	s_branch .LBB8_291
.LBB8_289:                              ;   in Loop: Header=BB8_276 Depth=1
	v_mov_b32_e32 v10, 0
	v_mov_b32_e32 v11, 0
.LBB8_290:                              ;   in Loop: Header=BB8_276 Depth=1
	s_mov_b64 s[10:11], s[0:1]
	s_mov_b32 s15, 0
	s_cbranch_execnz .LBB8_292
.LBB8_291:                              ;   in Loop: Header=BB8_276 Depth=1
	global_load_dwordx2 v[10:11], v26, s[0:1]
	s_add_i32 s15, s14, -8
.LBB8_292:                              ;   in Loop: Header=BB8_276 Depth=1
	s_add_u32 s0, s10, 8
	s_addc_u32 s1, s11, 0
	s_cmp_gt_u32 s15, 7
	s_cbranch_scc1 .LBB8_296
; %bb.293:                              ;   in Loop: Header=BB8_276 Depth=1
	s_cmp_eq_u32 s15, 0
	s_cbranch_scc1 .LBB8_297
; %bb.294:                              ;   in Loop: Header=BB8_276 Depth=1
	v_mov_b32_e32 v12, 0
	s_mov_b64 s[0:1], 0
	v_mov_b32_e32 v13, 0
	s_mov_b64 s[12:13], 0
.LBB8_295:                              ;   Parent Loop BB8_276 Depth=1
                                        ; =>  This Inner Loop Header: Depth=2
	s_add_u32 s16, s10, s12
	s_addc_u32 s17, s11, s13
	global_load_ubyte v6, v26, s[16:17]
	s_add_u32 s12, s12, 1
	s_addc_u32 s13, s13, 0
	s_waitcnt vmcnt(0)
	v_and_b32_e32 v25, 0xffff, v6
	v_lshlrev_b64 v[6:7], s0, v[25:26]
	s_add_u32 s0, s0, 8
	s_addc_u32 s1, s1, 0
	v_or_b32_e32 v12, v6, v12
	s_cmp_lg_u32 s15, s12
	v_or_b32_e32 v13, v7, v13
	s_cbranch_scc1 .LBB8_295
	s_branch .LBB8_298
.LBB8_296:                              ;   in Loop: Header=BB8_276 Depth=1
	s_mov_b32 s14, 0
	s_branch .LBB8_299
.LBB8_297:                              ;   in Loop: Header=BB8_276 Depth=1
	v_mov_b32_e32 v12, 0
	v_mov_b32_e32 v13, 0
.LBB8_298:                              ;   in Loop: Header=BB8_276 Depth=1
	s_mov_b64 s[0:1], s[10:11]
	s_mov_b32 s14, 0
	s_cbranch_execnz .LBB8_300
.LBB8_299:                              ;   in Loop: Header=BB8_276 Depth=1
	global_load_dwordx2 v[12:13], v26, s[10:11]
	s_add_i32 s14, s15, -8
.LBB8_300:                              ;   in Loop: Header=BB8_276 Depth=1
	s_add_u32 s10, s0, 8
	s_addc_u32 s11, s1, 0
	s_cmp_gt_u32 s14, 7
	s_cbranch_scc1 .LBB8_304
; %bb.301:                              ;   in Loop: Header=BB8_276 Depth=1
	s_cmp_eq_u32 s14, 0
	s_cbranch_scc1 .LBB8_305
; %bb.302:                              ;   in Loop: Header=BB8_276 Depth=1
	v_mov_b32_e32 v14, 0
	s_mov_b64 s[10:11], 0
	v_mov_b32_e32 v15, 0
	s_mov_b64 s[12:13], 0
.LBB8_303:                              ;   Parent Loop BB8_276 Depth=1
                                        ; =>  This Inner Loop Header: Depth=2
	s_add_u32 s16, s0, s12
	s_addc_u32 s17, s1, s13
	global_load_ubyte v6, v26, s[16:17]
	s_add_u32 s12, s12, 1
	s_addc_u32 s13, s13, 0
	s_waitcnt vmcnt(0)
	v_and_b32_e32 v25, 0xffff, v6
	v_lshlrev_b64 v[6:7], s10, v[25:26]
	s_add_u32 s10, s10, 8
	s_addc_u32 s11, s11, 0
	v_or_b32_e32 v14, v6, v14
	s_cmp_lg_u32 s14, s12
	v_or_b32_e32 v15, v7, v15
	s_cbranch_scc1 .LBB8_303
	s_branch .LBB8_306
.LBB8_304:                              ;   in Loop: Header=BB8_276 Depth=1
                                        ; implicit-def: $vgpr14_vgpr15
	s_mov_b32 s15, 0
	s_branch .LBB8_307
.LBB8_305:                              ;   in Loop: Header=BB8_276 Depth=1
	v_mov_b32_e32 v14, 0
	v_mov_b32_e32 v15, 0
.LBB8_306:                              ;   in Loop: Header=BB8_276 Depth=1
	s_mov_b64 s[10:11], s[0:1]
	s_mov_b32 s15, 0
	s_cbranch_execnz .LBB8_308
.LBB8_307:                              ;   in Loop: Header=BB8_276 Depth=1
	global_load_dwordx2 v[14:15], v26, s[0:1]
	s_add_i32 s15, s14, -8
.LBB8_308:                              ;   in Loop: Header=BB8_276 Depth=1
	s_add_u32 s0, s10, 8
	s_addc_u32 s1, s11, 0
	s_cmp_gt_u32 s15, 7
	s_cbranch_scc1 .LBB8_312
; %bb.309:                              ;   in Loop: Header=BB8_276 Depth=1
	s_cmp_eq_u32 s15, 0
	s_cbranch_scc1 .LBB8_313
; %bb.310:                              ;   in Loop: Header=BB8_276 Depth=1
	v_mov_b32_e32 v16, 0
	s_mov_b64 s[0:1], 0
	v_mov_b32_e32 v17, 0
	s_mov_b64 s[12:13], 0
.LBB8_311:                              ;   Parent Loop BB8_276 Depth=1
                                        ; =>  This Inner Loop Header: Depth=2
	s_add_u32 s16, s10, s12
	s_addc_u32 s17, s11, s13
	global_load_ubyte v6, v26, s[16:17]
	s_add_u32 s12, s12, 1
	s_addc_u32 s13, s13, 0
	s_waitcnt vmcnt(0)
	v_and_b32_e32 v25, 0xffff, v6
	v_lshlrev_b64 v[6:7], s0, v[25:26]
	s_add_u32 s0, s0, 8
	s_addc_u32 s1, s1, 0
	v_or_b32_e32 v16, v6, v16
	s_cmp_lg_u32 s15, s12
	v_or_b32_e32 v17, v7, v17
	s_cbranch_scc1 .LBB8_311
	s_branch .LBB8_314
.LBB8_312:                              ;   in Loop: Header=BB8_276 Depth=1
	s_mov_b32 s14, 0
	s_branch .LBB8_315
.LBB8_313:                              ;   in Loop: Header=BB8_276 Depth=1
	v_mov_b32_e32 v16, 0
	v_mov_b32_e32 v17, 0
.LBB8_314:                              ;   in Loop: Header=BB8_276 Depth=1
	s_mov_b64 s[0:1], s[10:11]
	s_mov_b32 s14, 0
	s_cbranch_execnz .LBB8_316
.LBB8_315:                              ;   in Loop: Header=BB8_276 Depth=1
	global_load_dwordx2 v[16:17], v26, s[10:11]
	s_add_i32 s14, s15, -8
.LBB8_316:                              ;   in Loop: Header=BB8_276 Depth=1
	s_add_u32 s10, s0, 8
	s_addc_u32 s11, s1, 0
	s_cmp_gt_u32 s14, 7
	s_cbranch_scc1 .LBB8_320
; %bb.317:                              ;   in Loop: Header=BB8_276 Depth=1
	s_cmp_eq_u32 s14, 0
	s_cbranch_scc1 .LBB8_321
; %bb.318:                              ;   in Loop: Header=BB8_276 Depth=1
	v_mov_b32_e32 v18, 0
	s_mov_b64 s[10:11], 0
	v_mov_b32_e32 v19, 0
	s_mov_b64 s[12:13], 0
.LBB8_319:                              ;   Parent Loop BB8_276 Depth=1
                                        ; =>  This Inner Loop Header: Depth=2
	s_add_u32 s16, s0, s12
	s_addc_u32 s17, s1, s13
	global_load_ubyte v6, v26, s[16:17]
	s_add_u32 s12, s12, 1
	s_addc_u32 s13, s13, 0
	s_waitcnt vmcnt(0)
	v_and_b32_e32 v25, 0xffff, v6
	v_lshlrev_b64 v[6:7], s10, v[25:26]
	s_add_u32 s10, s10, 8
	s_addc_u32 s11, s11, 0
	v_or_b32_e32 v18, v6, v18
	s_cmp_lg_u32 s14, s12
	v_or_b32_e32 v19, v7, v19
	s_cbranch_scc1 .LBB8_319
	s_branch .LBB8_322
.LBB8_320:                              ;   in Loop: Header=BB8_276 Depth=1
                                        ; implicit-def: $vgpr18_vgpr19
	s_mov_b32 s15, 0
	s_branch .LBB8_323
.LBB8_321:                              ;   in Loop: Header=BB8_276 Depth=1
	v_mov_b32_e32 v18, 0
	v_mov_b32_e32 v19, 0
.LBB8_322:                              ;   in Loop: Header=BB8_276 Depth=1
	s_mov_b64 s[10:11], s[0:1]
	s_mov_b32 s15, 0
	s_cbranch_execnz .LBB8_324
.LBB8_323:                              ;   in Loop: Header=BB8_276 Depth=1
	global_load_dwordx2 v[18:19], v26, s[0:1]
	s_add_i32 s15, s14, -8
.LBB8_324:                              ;   in Loop: Header=BB8_276 Depth=1
	s_cmp_gt_u32 s15, 7
	s_cbranch_scc1 .LBB8_328
; %bb.325:                              ;   in Loop: Header=BB8_276 Depth=1
	s_cmp_eq_u32 s15, 0
	s_cbranch_scc1 .LBB8_329
; %bb.326:                              ;   in Loop: Header=BB8_276 Depth=1
	v_mov_b32_e32 v20, 0
	s_mov_b64 s[0:1], 0
	v_mov_b32_e32 v21, 0
	s_mov_b64 s[12:13], s[10:11]
.LBB8_327:                              ;   Parent Loop BB8_276 Depth=1
                                        ; =>  This Inner Loop Header: Depth=2
	global_load_ubyte v6, v26, s[12:13]
	s_add_i32 s15, s15, -1
	s_waitcnt vmcnt(0)
	v_and_b32_e32 v25, 0xffff, v6
	v_lshlrev_b64 v[6:7], s0, v[25:26]
	s_add_u32 s0, s0, 8
	s_addc_u32 s1, s1, 0
	s_add_u32 s12, s12, 1
	s_addc_u32 s13, s13, 0
	v_or_b32_e32 v20, v6, v20
	s_cmp_lg_u32 s15, 0
	v_or_b32_e32 v21, v7, v21
	s_cbranch_scc1 .LBB8_327
	s_branch .LBB8_330
.LBB8_328:                              ;   in Loop: Header=BB8_276 Depth=1
	s_branch .LBB8_331
.LBB8_329:                              ;   in Loop: Header=BB8_276 Depth=1
	v_mov_b32_e32 v20, 0
	v_mov_b32_e32 v21, 0
.LBB8_330:                              ;   in Loop: Header=BB8_276 Depth=1
	s_cbranch_execnz .LBB8_332
.LBB8_331:                              ;   in Loop: Header=BB8_276 Depth=1
	global_load_dwordx2 v[20:21], v26, s[10:11]
.LBB8_332:                              ;   in Loop: Header=BB8_276 Depth=1
	v_readfirstlane_b32 s0, v32
	v_mov_b32_e32 v6, 0
	v_mov_b32_e32 v7, 0
	v_cmp_eq_u32_e64 s[0:1], s0, v32
	s_and_saveexec_b64 s[10:11], s[0:1]
	s_cbranch_execz .LBB8_338
; %bb.333:                              ;   in Loop: Header=BB8_276 Depth=1
	global_load_dwordx2 v[24:25], v26, s[2:3] offset:24 glc
	s_waitcnt vmcnt(0)
	buffer_wbinvl1_vol
	global_load_dwordx2 v[6:7], v26, s[2:3] offset:40
	global_load_dwordx2 v[22:23], v26, s[2:3]
	s_waitcnt vmcnt(1)
	v_and_b32_e32 v6, v6, v24
	v_and_b32_e32 v7, v7, v25
	v_mul_lo_u32 v7, v7, 24
	v_mul_hi_u32 v27, v6, 24
	v_mul_lo_u32 v6, v6, 24
	v_add_u32_e32 v7, v27, v7
	s_waitcnt vmcnt(0)
	v_add_co_u32_e32 v6, vcc, v22, v6
	v_addc_co_u32_e32 v7, vcc, v23, v7, vcc
	global_load_dwordx2 v[22:23], v[6:7], off glc
	s_waitcnt vmcnt(0)
	global_atomic_cmpswap_x2 v[6:7], v26, v[22:25], s[2:3] offset:24 glc
	s_waitcnt vmcnt(0)
	buffer_wbinvl1_vol
	v_cmp_ne_u64_e32 vcc, v[6:7], v[24:25]
	s_and_saveexec_b64 s[12:13], vcc
	s_cbranch_execz .LBB8_337
; %bb.334:                              ;   in Loop: Header=BB8_276 Depth=1
	s_mov_b64 s[14:15], 0
.LBB8_335:                              ;   Parent Loop BB8_276 Depth=1
                                        ; =>  This Inner Loop Header: Depth=2
	s_sleep 1
	global_load_dwordx2 v[22:23], v26, s[2:3] offset:40
	global_load_dwordx2 v[27:28], v26, s[2:3]
	v_mov_b32_e32 v25, v7
	v_mov_b32_e32 v24, v6
	s_waitcnt vmcnt(1)
	v_and_b32_e32 v6, v22, v24
	s_waitcnt vmcnt(0)
	v_mad_u64_u32 v[6:7], s[16:17], v6, 24, v[27:28]
	v_and_b32_e32 v22, v23, v25
	v_mad_u64_u32 v[22:23], s[16:17], v22, 24, v[7:8]
	v_mov_b32_e32 v7, v22
	global_load_dwordx2 v[22:23], v[6:7], off glc
	s_waitcnt vmcnt(0)
	global_atomic_cmpswap_x2 v[6:7], v26, v[22:25], s[2:3] offset:24 glc
	s_waitcnt vmcnt(0)
	buffer_wbinvl1_vol
	v_cmp_eq_u64_e32 vcc, v[6:7], v[24:25]
	s_or_b64 s[14:15], vcc, s[14:15]
	s_andn2_b64 exec, exec, s[14:15]
	s_cbranch_execnz .LBB8_335
; %bb.336:                              ;   in Loop: Header=BB8_276 Depth=1
	s_or_b64 exec, exec, s[14:15]
.LBB8_337:                              ;   in Loop: Header=BB8_276 Depth=1
	s_or_b64 exec, exec, s[12:13]
.LBB8_338:                              ;   in Loop: Header=BB8_276 Depth=1
	s_or_b64 exec, exec, s[10:11]
	global_load_dwordx2 v[27:28], v26, s[2:3] offset:40
	global_load_dwordx4 v[22:25], v26, s[2:3]
	v_readfirstlane_b32 s11, v7
	v_readfirstlane_b32 s10, v6
	s_mov_b64 s[12:13], exec
	s_waitcnt vmcnt(1)
	v_readfirstlane_b32 s14, v27
	v_readfirstlane_b32 s15, v28
	s_and_b64 s[14:15], s[14:15], s[10:11]
	s_mul_i32 s16, s15, 24
	s_mul_hi_u32 s17, s14, 24
	s_mul_i32 s18, s14, 24
	s_add_i32 s16, s17, s16
	v_mov_b32_e32 v6, s16
	s_waitcnt vmcnt(0)
	v_add_co_u32_e32 v27, vcc, s18, v22
	v_addc_co_u32_e32 v28, vcc, v23, v6, vcc
	s_and_saveexec_b64 s[16:17], s[0:1]
	s_cbranch_execz .LBB8_340
; %bb.339:                              ;   in Loop: Header=BB8_276 Depth=1
	v_mov_b32_e32 v6, s12
	v_mov_b32_e32 v7, s13
	global_store_dwordx4 v[27:28], v[6:9], off offset:8
.LBB8_340:                              ;   in Loop: Header=BB8_276 Depth=1
	s_or_b64 exec, exec, s[16:17]
	s_lshl_b64 s[12:13], s[14:15], 12
	v_mov_b32_e32 v6, s13
	v_add_co_u32_e32 v24, vcc, s12, v24
	v_addc_co_u32_e32 v30, vcc, v25, v6, vcc
	v_cmp_lt_u64_e64 vcc, s[6:7], 57
	s_lshl_b32 s12, s8, 2
	v_cndmask_b32_e32 v6, 0, v29, vcc
	s_add_i32 s12, s12, 28
	v_and_b32_e32 v2, 0xffffff1f, v2
	s_and_b32 s12, s12, 0x1e0
	v_or_b32_e32 v2, v2, v6
	v_or_b32_e32 v2, s12, v2
	v_readfirstlane_b32 s12, v24
	v_readfirstlane_b32 s13, v30
	s_nop 4
	global_store_dwordx4 v31, v[2:5], s[12:13]
	global_store_dwordx4 v31, v[10:13], s[12:13] offset:16
	global_store_dwordx4 v31, v[14:17], s[12:13] offset:32
	;; [unrolled: 1-line block ×3, first 2 shown]
	s_and_saveexec_b64 s[12:13], s[0:1]
	s_cbranch_execz .LBB8_348
; %bb.341:                              ;   in Loop: Header=BB8_276 Depth=1
	global_load_dwordx2 v[12:13], v26, s[2:3] offset:32 glc
	global_load_dwordx2 v[2:3], v26, s[2:3] offset:40
	v_mov_b32_e32 v10, s10
	v_mov_b32_e32 v11, s11
	s_waitcnt vmcnt(0)
	v_readfirstlane_b32 s14, v2
	v_readfirstlane_b32 s15, v3
	s_and_b64 s[14:15], s[14:15], s[10:11]
	s_mul_i32 s15, s15, 24
	s_mul_hi_u32 s16, s14, 24
	s_mul_i32 s14, s14, 24
	s_add_i32 s15, s16, s15
	v_mov_b32_e32 v2, s15
	v_add_co_u32_e32 v6, vcc, s14, v22
	v_addc_co_u32_e32 v7, vcc, v23, v2, vcc
	global_store_dwordx2 v[6:7], v[12:13], off
	s_waitcnt vmcnt(0)
	global_atomic_cmpswap_x2 v[4:5], v26, v[10:13], s[2:3] offset:32 glc
	s_waitcnt vmcnt(0)
	v_cmp_ne_u64_e32 vcc, v[4:5], v[12:13]
	s_and_saveexec_b64 s[14:15], vcc
	s_cbranch_execz .LBB8_344
; %bb.342:                              ;   in Loop: Header=BB8_276 Depth=1
	s_mov_b64 s[16:17], 0
.LBB8_343:                              ;   Parent Loop BB8_276 Depth=1
                                        ; =>  This Inner Loop Header: Depth=2
	s_sleep 1
	global_store_dwordx2 v[6:7], v[4:5], off
	v_mov_b32_e32 v2, s10
	v_mov_b32_e32 v3, s11
	s_waitcnt vmcnt(0)
	global_atomic_cmpswap_x2 v[2:3], v26, v[2:5], s[2:3] offset:32 glc
	s_waitcnt vmcnt(0)
	v_cmp_eq_u64_e32 vcc, v[2:3], v[4:5]
	v_mov_b32_e32 v5, v3
	s_or_b64 s[16:17], vcc, s[16:17]
	v_mov_b32_e32 v4, v2
	s_andn2_b64 exec, exec, s[16:17]
	s_cbranch_execnz .LBB8_343
.LBB8_344:                              ;   in Loop: Header=BB8_276 Depth=1
	s_or_b64 exec, exec, s[14:15]
	global_load_dwordx2 v[2:3], v26, s[2:3] offset:16
	s_mov_b64 s[16:17], exec
	v_mbcnt_lo_u32_b32 v4, s16, 0
	v_mbcnt_hi_u32_b32 v4, s17, v4
	v_cmp_eq_u32_e32 vcc, 0, v4
	s_and_saveexec_b64 s[14:15], vcc
	s_cbranch_execz .LBB8_346
; %bb.345:                              ;   in Loop: Header=BB8_276 Depth=1
	s_bcnt1_i32_b64 s16, s[16:17]
	v_mov_b32_e32 v25, s16
	s_waitcnt vmcnt(0)
	global_atomic_add_x2 v[2:3], v[25:26], off offset:8
.LBB8_346:                              ;   in Loop: Header=BB8_276 Depth=1
	s_or_b64 exec, exec, s[14:15]
	s_waitcnt vmcnt(0)
	global_load_dwordx2 v[4:5], v[2:3], off offset:16
	s_waitcnt vmcnt(0)
	v_cmp_eq_u64_e32 vcc, 0, v[4:5]
	s_cbranch_vccnz .LBB8_348
; %bb.347:                              ;   in Loop: Header=BB8_276 Depth=1
	global_load_dword v25, v[2:3], off offset:24
	s_waitcnt vmcnt(0)
	v_readfirstlane_b32 s14, v25
	s_and_b32 m0, s14, 0xffffff
	global_store_dwordx2 v[4:5], v[25:26], off
	s_sendmsg sendmsg(MSG_INTERRUPT)
.LBB8_348:                              ;   in Loop: Header=BB8_276 Depth=1
	s_or_b64 exec, exec, s[12:13]
	v_add_co_u32_e32 v2, vcc, v24, v31
	v_addc_co_u32_e32 v3, vcc, 0, v30, vcc
	s_branch .LBB8_352
.LBB8_349:                              ;   in Loop: Header=BB8_352 Depth=2
	s_or_b64 exec, exec, s[12:13]
	v_readfirstlane_b32 s12, v4
	s_cmp_eq_u32 s12, 0
	s_cbranch_scc1 .LBB8_351
; %bb.350:                              ;   in Loop: Header=BB8_352 Depth=2
	s_sleep 1
	s_cbranch_execnz .LBB8_352
	s_branch .LBB8_354
.LBB8_351:                              ;   in Loop: Header=BB8_276 Depth=1
	s_branch .LBB8_354
.LBB8_352:                              ;   Parent Loop BB8_276 Depth=1
                                        ; =>  This Inner Loop Header: Depth=2
	v_mov_b32_e32 v4, 1
	s_and_saveexec_b64 s[12:13], s[0:1]
	s_cbranch_execz .LBB8_349
; %bb.353:                              ;   in Loop: Header=BB8_352 Depth=2
	global_load_dword v4, v[27:28], off offset:20 glc
	s_waitcnt vmcnt(0)
	buffer_wbinvl1_vol
	v_and_b32_e32 v4, 1, v4
	s_branch .LBB8_349
.LBB8_354:                              ;   in Loop: Header=BB8_276 Depth=1
	global_load_dwordx2 v[2:3], v[2:3], off
	s_and_saveexec_b64 s[12:13], s[0:1]
	s_cbranch_execz .LBB8_275
; %bb.355:                              ;   in Loop: Header=BB8_276 Depth=1
	global_load_dwordx2 v[4:5], v26, s[2:3] offset:40
	global_load_dwordx2 v[14:15], v26, s[2:3] offset:24 glc
	global_load_dwordx2 v[6:7], v26, s[2:3]
	s_waitcnt vmcnt(2)
	v_readfirstlane_b32 s14, v4
	v_readfirstlane_b32 s15, v5
	s_add_u32 s16, s14, 1
	s_addc_u32 s17, s15, 0
	s_add_u32 s0, s16, s10
	s_addc_u32 s1, s17, s11
	s_cmp_eq_u64 s[0:1], 0
	s_cselect_b32 s1, s17, s1
	s_cselect_b32 s0, s16, s0
	s_and_b64 s[10:11], s[0:1], s[14:15]
	s_mul_i32 s11, s11, 24
	s_mul_hi_u32 s14, s10, 24
	s_mul_i32 s10, s10, 24
	s_add_i32 s11, s14, s11
	v_mov_b32_e32 v4, s11
	s_waitcnt vmcnt(0)
	v_add_co_u32_e32 v10, vcc, s10, v6
	v_addc_co_u32_e32 v11, vcc, v7, v4, vcc
	v_mov_b32_e32 v12, s0
	global_store_dwordx2 v[10:11], v[14:15], off
	v_mov_b32_e32 v13, s1
	s_waitcnt vmcnt(0)
	global_atomic_cmpswap_x2 v[6:7], v26, v[12:15], s[2:3] offset:24 glc
	s_waitcnt vmcnt(0)
	v_cmp_ne_u64_e32 vcc, v[6:7], v[14:15]
	s_and_b64 exec, exec, vcc
	s_cbranch_execz .LBB8_275
; %bb.356:                              ;   in Loop: Header=BB8_276 Depth=1
	s_mov_b64 s[10:11], 0
.LBB8_357:                              ;   Parent Loop BB8_276 Depth=1
                                        ; =>  This Inner Loop Header: Depth=2
	s_sleep 1
	global_store_dwordx2 v[10:11], v[6:7], off
	v_mov_b32_e32 v4, s0
	v_mov_b32_e32 v5, s1
	s_waitcnt vmcnt(0)
	global_atomic_cmpswap_x2 v[4:5], v26, v[4:7], s[2:3] offset:24 glc
	s_waitcnt vmcnt(0)
	v_cmp_eq_u64_e32 vcc, v[4:5], v[6:7]
	v_mov_b32_e32 v7, v5
	s_or_b64 s[10:11], vcc, s[10:11]
	v_mov_b32_e32 v6, v4
	s_andn2_b64 exec, exec, s[10:11]
	s_cbranch_execnz .LBB8_357
	s_branch .LBB8_275
.LBB8_358:
	s_mov_b64 s[0:1], -1
                                        ; implicit-def: $vgpr2_vgpr3
	s_branch .LBB8_360
.LBB8_359:
	s_mov_b64 s[0:1], 0
.LBB8_360:
	s_and_b64 vcc, exec, s[0:1]
	s_cbranch_vccz .LBB8_387
; %bb.361:
	v_readfirstlane_b32 s0, v32
	v_mov_b32_e32 v8, 0
	v_mov_b32_e32 v9, 0
	v_cmp_eq_u32_e64 s[0:1], s0, v32
	s_and_saveexec_b64 s[4:5], s[0:1]
	s_cbranch_execz .LBB8_367
; %bb.362:
	s_waitcnt vmcnt(0)
	v_mov_b32_e32 v2, 0
	global_load_dwordx2 v[5:6], v2, s[2:3] offset:24 glc
	s_waitcnt vmcnt(0)
	buffer_wbinvl1_vol
	global_load_dwordx2 v[3:4], v2, s[2:3] offset:40
	global_load_dwordx2 v[7:8], v2, s[2:3]
	s_waitcnt vmcnt(1)
	v_and_b32_e32 v3, v3, v5
	v_and_b32_e32 v4, v4, v6
	v_mul_lo_u32 v4, v4, 24
	v_mul_hi_u32 v9, v3, 24
	v_mul_lo_u32 v3, v3, 24
	v_add_u32_e32 v4, v9, v4
	s_waitcnt vmcnt(0)
	v_add_co_u32_e32 v3, vcc, v7, v3
	v_addc_co_u32_e32 v4, vcc, v8, v4, vcc
	global_load_dwordx2 v[3:4], v[3:4], off glc
	s_waitcnt vmcnt(0)
	global_atomic_cmpswap_x2 v[8:9], v2, v[3:6], s[2:3] offset:24 glc
	s_waitcnt vmcnt(0)
	buffer_wbinvl1_vol
	v_cmp_ne_u64_e32 vcc, v[8:9], v[5:6]
	s_and_saveexec_b64 s[6:7], vcc
	s_cbranch_execz .LBB8_366
; %bb.363:
	s_mov_b64 s[8:9], 0
.LBB8_364:                              ; =>This Inner Loop Header: Depth=1
	s_sleep 1
	global_load_dwordx2 v[3:4], v2, s[2:3] offset:40
	global_load_dwordx2 v[10:11], v2, s[2:3]
	v_mov_b32_e32 v5, v8
	v_mov_b32_e32 v6, v9
	s_waitcnt vmcnt(1)
	v_and_b32_e32 v3, v3, v5
	s_waitcnt vmcnt(0)
	v_mad_u64_u32 v[7:8], s[10:11], v3, 24, v[10:11]
	v_and_b32_e32 v4, v4, v6
	v_mov_b32_e32 v3, v8
	v_mad_u64_u32 v[3:4], s[10:11], v4, 24, v[3:4]
	v_mov_b32_e32 v8, v3
	global_load_dwordx2 v[3:4], v[7:8], off glc
	s_waitcnt vmcnt(0)
	global_atomic_cmpswap_x2 v[8:9], v2, v[3:6], s[2:3] offset:24 glc
	s_waitcnt vmcnt(0)
	buffer_wbinvl1_vol
	v_cmp_eq_u64_e32 vcc, v[8:9], v[5:6]
	s_or_b64 s[8:9], vcc, s[8:9]
	s_andn2_b64 exec, exec, s[8:9]
	s_cbranch_execnz .LBB8_364
; %bb.365:
	s_or_b64 exec, exec, s[8:9]
.LBB8_366:
	s_or_b64 exec, exec, s[6:7]
.LBB8_367:
	s_or_b64 exec, exec, s[4:5]
	s_waitcnt vmcnt(0)
	v_mov_b32_e32 v2, 0
	global_load_dwordx2 v[10:11], v2, s[2:3] offset:40
	global_load_dwordx4 v[4:7], v2, s[2:3]
	v_readfirstlane_b32 s5, v9
	v_readfirstlane_b32 s4, v8
	s_mov_b64 s[6:7], exec
	s_waitcnt vmcnt(1)
	v_readfirstlane_b32 s8, v10
	v_readfirstlane_b32 s9, v11
	s_and_b64 s[8:9], s[8:9], s[4:5]
	s_mul_i32 s10, s9, 24
	s_mul_hi_u32 s11, s8, 24
	s_mul_i32 s12, s8, 24
	s_add_i32 s10, s11, s10
	v_mov_b32_e32 v3, s10
	s_waitcnt vmcnt(0)
	v_add_co_u32_e32 v8, vcc, s12, v4
	v_addc_co_u32_e32 v9, vcc, v5, v3, vcc
	s_and_saveexec_b64 s[10:11], s[0:1]
	s_cbranch_execz .LBB8_369
; %bb.368:
	v_mov_b32_e32 v11, s7
	v_mov_b32_e32 v10, s6
	;; [unrolled: 1-line block ×4, first 2 shown]
	global_store_dwordx4 v[8:9], v[10:13], off offset:8
.LBB8_369:
	s_or_b64 exec, exec, s[10:11]
	s_lshl_b64 s[6:7], s[8:9], 12
	v_mov_b32_e32 v3, s7
	v_add_co_u32_e32 v10, vcc, s6, v6
	v_addc_co_u32_e32 v11, vcc, v7, v3, vcc
	s_movk_i32 s6, 0xff1f
	v_and_or_b32 v0, v0, s6, 32
	s_mov_b32 s8, 0
	v_mov_b32_e32 v3, v2
	v_readfirstlane_b32 s6, v10
	v_readfirstlane_b32 s7, v11
	v_add_co_u32_e32 v6, vcc, v10, v31
	s_mov_b32 s9, s8
	s_mov_b32 s10, s8
	;; [unrolled: 1-line block ×3, first 2 shown]
	s_nop 0
	global_store_dwordx4 v31, v[0:3], s[6:7]
	v_addc_co_u32_e32 v7, vcc, 0, v11, vcc
	v_mov_b32_e32 v0, s8
	v_mov_b32_e32 v1, s9
	;; [unrolled: 1-line block ×4, first 2 shown]
	global_store_dwordx4 v31, v[0:3], s[6:7] offset:16
	global_store_dwordx4 v31, v[0:3], s[6:7] offset:32
	;; [unrolled: 1-line block ×3, first 2 shown]
	s_and_saveexec_b64 s[6:7], s[0:1]
	s_cbranch_execz .LBB8_377
; %bb.370:
	v_mov_b32_e32 v10, 0
	global_load_dwordx2 v[13:14], v10, s[2:3] offset:32 glc
	global_load_dwordx2 v[0:1], v10, s[2:3] offset:40
	v_mov_b32_e32 v11, s4
	v_mov_b32_e32 v12, s5
	s_waitcnt vmcnt(0)
	v_readfirstlane_b32 s8, v0
	v_readfirstlane_b32 s9, v1
	s_and_b64 s[8:9], s[8:9], s[4:5]
	s_mul_i32 s9, s9, 24
	s_mul_hi_u32 s10, s8, 24
	s_mul_i32 s8, s8, 24
	s_add_i32 s9, s10, s9
	v_mov_b32_e32 v0, s9
	v_add_co_u32_e32 v4, vcc, s8, v4
	v_addc_co_u32_e32 v5, vcc, v5, v0, vcc
	global_store_dwordx2 v[4:5], v[13:14], off
	s_waitcnt vmcnt(0)
	global_atomic_cmpswap_x2 v[2:3], v10, v[11:14], s[2:3] offset:32 glc
	s_waitcnt vmcnt(0)
	v_cmp_ne_u64_e32 vcc, v[2:3], v[13:14]
	s_and_saveexec_b64 s[8:9], vcc
	s_cbranch_execz .LBB8_373
; %bb.371:
	s_mov_b64 s[10:11], 0
.LBB8_372:                              ; =>This Inner Loop Header: Depth=1
	s_sleep 1
	global_store_dwordx2 v[4:5], v[2:3], off
	v_mov_b32_e32 v0, s4
	v_mov_b32_e32 v1, s5
	s_waitcnt vmcnt(0)
	global_atomic_cmpswap_x2 v[0:1], v10, v[0:3], s[2:3] offset:32 glc
	s_waitcnt vmcnt(0)
	v_cmp_eq_u64_e32 vcc, v[0:1], v[2:3]
	v_mov_b32_e32 v3, v1
	s_or_b64 s[10:11], vcc, s[10:11]
	v_mov_b32_e32 v2, v0
	s_andn2_b64 exec, exec, s[10:11]
	s_cbranch_execnz .LBB8_372
.LBB8_373:
	s_or_b64 exec, exec, s[8:9]
	v_mov_b32_e32 v3, 0
	global_load_dwordx2 v[0:1], v3, s[2:3] offset:16
	s_mov_b64 s[8:9], exec
	v_mbcnt_lo_u32_b32 v2, s8, 0
	v_mbcnt_hi_u32_b32 v2, s9, v2
	v_cmp_eq_u32_e32 vcc, 0, v2
	s_and_saveexec_b64 s[10:11], vcc
	s_cbranch_execz .LBB8_375
; %bb.374:
	s_bcnt1_i32_b64 s8, s[8:9]
	v_mov_b32_e32 v2, s8
	s_waitcnt vmcnt(0)
	global_atomic_add_x2 v[0:1], v[2:3], off offset:8
.LBB8_375:
	s_or_b64 exec, exec, s[10:11]
	s_waitcnt vmcnt(0)
	global_load_dwordx2 v[2:3], v[0:1], off offset:16
	s_waitcnt vmcnt(0)
	v_cmp_eq_u64_e32 vcc, 0, v[2:3]
	s_cbranch_vccnz .LBB8_377
; %bb.376:
	global_load_dword v0, v[0:1], off offset:24
	v_mov_b32_e32 v1, 0
	s_waitcnt vmcnt(0)
	v_readfirstlane_b32 s8, v0
	s_and_b32 m0, s8, 0xffffff
	global_store_dwordx2 v[2:3], v[0:1], off
	s_sendmsg sendmsg(MSG_INTERRUPT)
.LBB8_377:
	s_or_b64 exec, exec, s[6:7]
	s_branch .LBB8_381
.LBB8_378:                              ;   in Loop: Header=BB8_381 Depth=1
	s_or_b64 exec, exec, s[6:7]
	v_readfirstlane_b32 s6, v0
	s_cmp_eq_u32 s6, 0
	s_cbranch_scc1 .LBB8_380
; %bb.379:                              ;   in Loop: Header=BB8_381 Depth=1
	s_sleep 1
	s_cbranch_execnz .LBB8_381
	s_branch .LBB8_383
.LBB8_380:
	s_branch .LBB8_383
.LBB8_381:                              ; =>This Inner Loop Header: Depth=1
	v_mov_b32_e32 v0, 1
	s_and_saveexec_b64 s[6:7], s[0:1]
	s_cbranch_execz .LBB8_378
; %bb.382:                              ;   in Loop: Header=BB8_381 Depth=1
	global_load_dword v0, v[8:9], off offset:20 glc
	s_waitcnt vmcnt(0)
	buffer_wbinvl1_vol
	v_and_b32_e32 v0, 1, v0
	s_branch .LBB8_378
.LBB8_383:
	global_load_dwordx2 v[2:3], v[6:7], off
	s_and_saveexec_b64 s[6:7], s[0:1]
	s_cbranch_execz .LBB8_386
; %bb.384:
	v_mov_b32_e32 v8, 0
	global_load_dwordx2 v[0:1], v8, s[2:3] offset:40
	global_load_dwordx2 v[11:12], v8, s[2:3] offset:24 glc
	global_load_dwordx2 v[4:5], v8, s[2:3]
	s_waitcnt vmcnt(2)
	v_readfirstlane_b32 s8, v0
	v_readfirstlane_b32 s9, v1
	s_add_u32 s10, s8, 1
	s_addc_u32 s11, s9, 0
	s_add_u32 s0, s10, s4
	s_addc_u32 s1, s11, s5
	s_cmp_eq_u64 s[0:1], 0
	s_cselect_b32 s1, s11, s1
	s_cselect_b32 s0, s10, s0
	s_and_b64 s[4:5], s[0:1], s[8:9]
	s_mul_i32 s5, s5, 24
	s_mul_hi_u32 s8, s4, 24
	s_mul_i32 s4, s4, 24
	s_add_i32 s5, s8, s5
	v_mov_b32_e32 v1, s5
	s_waitcnt vmcnt(0)
	v_add_co_u32_e32 v0, vcc, s4, v4
	v_addc_co_u32_e32 v1, vcc, v5, v1, vcc
	v_mov_b32_e32 v9, s0
	global_store_dwordx2 v[0:1], v[11:12], off
	v_mov_b32_e32 v10, s1
	s_waitcnt vmcnt(0)
	global_atomic_cmpswap_x2 v[6:7], v8, v[9:12], s[2:3] offset:24 glc
	s_mov_b64 s[4:5], 0
	s_waitcnt vmcnt(0)
	v_cmp_ne_u64_e32 vcc, v[6:7], v[11:12]
	s_and_b64 exec, exec, vcc
	s_cbranch_execz .LBB8_386
.LBB8_385:                              ; =>This Inner Loop Header: Depth=1
	s_sleep 1
	global_store_dwordx2 v[0:1], v[6:7], off
	v_mov_b32_e32 v4, s0
	v_mov_b32_e32 v5, s1
	s_waitcnt vmcnt(0)
	global_atomic_cmpswap_x2 v[4:5], v8, v[4:7], s[2:3] offset:24 glc
	s_waitcnt vmcnt(0)
	v_cmp_eq_u64_e32 vcc, v[4:5], v[6:7]
	v_mov_b32_e32 v7, v5
	s_or_b64 s[4:5], vcc, s[4:5]
	v_mov_b32_e32 v6, v4
	s_andn2_b64 exec, exec, s[4:5]
	s_cbranch_execnz .LBB8_385
.LBB8_386:
	s_or_b64 exec, exec, s[6:7]
.LBB8_387:
	v_readfirstlane_b32 s0, v32
	s_waitcnt vmcnt(0)
	v_mov_b32_e32 v0, 0
	v_mov_b32_e32 v1, 0
	v_cmp_eq_u32_e64 s[0:1], s0, v32
	s_and_saveexec_b64 s[4:5], s[0:1]
	s_cbranch_execz .LBB8_393
; %bb.388:
	v_mov_b32_e32 v4, 0
	global_load_dwordx2 v[7:8], v4, s[2:3] offset:24 glc
	s_waitcnt vmcnt(0)
	buffer_wbinvl1_vol
	global_load_dwordx2 v[0:1], v4, s[2:3] offset:40
	global_load_dwordx2 v[5:6], v4, s[2:3]
	s_waitcnt vmcnt(1)
	v_and_b32_e32 v0, v0, v7
	v_and_b32_e32 v1, v1, v8
	v_mul_lo_u32 v1, v1, 24
	v_mul_hi_u32 v9, v0, 24
	v_mul_lo_u32 v0, v0, 24
	v_add_u32_e32 v1, v9, v1
	s_waitcnt vmcnt(0)
	v_add_co_u32_e32 v0, vcc, v5, v0
	v_addc_co_u32_e32 v1, vcc, v6, v1, vcc
	global_load_dwordx2 v[5:6], v[0:1], off glc
	s_waitcnt vmcnt(0)
	global_atomic_cmpswap_x2 v[0:1], v4, v[5:8], s[2:3] offset:24 glc
	s_waitcnt vmcnt(0)
	buffer_wbinvl1_vol
	v_cmp_ne_u64_e32 vcc, v[0:1], v[7:8]
	s_and_saveexec_b64 s[6:7], vcc
	s_cbranch_execz .LBB8_392
; %bb.389:
	s_mov_b64 s[8:9], 0
.LBB8_390:                              ; =>This Inner Loop Header: Depth=1
	s_sleep 1
	global_load_dwordx2 v[5:6], v4, s[2:3] offset:40
	global_load_dwordx2 v[9:10], v4, s[2:3]
	v_mov_b32_e32 v8, v1
	v_mov_b32_e32 v7, v0
	s_waitcnt vmcnt(1)
	v_and_b32_e32 v0, v5, v7
	s_waitcnt vmcnt(0)
	v_mad_u64_u32 v[0:1], s[10:11], v0, 24, v[9:10]
	v_and_b32_e32 v5, v6, v8
	v_mad_u64_u32 v[5:6], s[10:11], v5, 24, v[1:2]
	v_mov_b32_e32 v1, v5
	global_load_dwordx2 v[5:6], v[0:1], off glc
	s_waitcnt vmcnt(0)
	global_atomic_cmpswap_x2 v[0:1], v4, v[5:8], s[2:3] offset:24 glc
	s_waitcnt vmcnt(0)
	buffer_wbinvl1_vol
	v_cmp_eq_u64_e32 vcc, v[0:1], v[7:8]
	s_or_b64 s[8:9], vcc, s[8:9]
	s_andn2_b64 exec, exec, s[8:9]
	s_cbranch_execnz .LBB8_390
; %bb.391:
	s_or_b64 exec, exec, s[8:9]
.LBB8_392:
	s_or_b64 exec, exec, s[6:7]
.LBB8_393:
	s_or_b64 exec, exec, s[4:5]
	v_mov_b32_e32 v5, 0
	global_load_dwordx2 v[10:11], v5, s[2:3] offset:40
	global_load_dwordx4 v[6:9], v5, s[2:3]
	v_readfirstlane_b32 s5, v1
	v_readfirstlane_b32 s4, v0
	s_mov_b64 s[6:7], exec
	s_waitcnt vmcnt(1)
	v_readfirstlane_b32 s8, v10
	v_readfirstlane_b32 s9, v11
	s_and_b64 s[8:9], s[8:9], s[4:5]
	s_mul_i32 s10, s9, 24
	s_mul_hi_u32 s11, s8, 24
	s_mul_i32 s12, s8, 24
	s_add_i32 s10, s11, s10
	v_mov_b32_e32 v0, s10
	s_waitcnt vmcnt(0)
	v_add_co_u32_e32 v10, vcc, s12, v6
	v_addc_co_u32_e32 v11, vcc, v7, v0, vcc
	s_and_saveexec_b64 s[10:11], s[0:1]
	s_cbranch_execz .LBB8_395
; %bb.394:
	v_mov_b32_e32 v13, s7
	v_mov_b32_e32 v12, s6
	;; [unrolled: 1-line block ×4, first 2 shown]
	global_store_dwordx4 v[10:11], v[12:15], off offset:8
.LBB8_395:
	s_or_b64 exec, exec, s[10:11]
	s_lshl_b64 s[6:7], s[8:9], 12
	v_mov_b32_e32 v0, s7
	v_add_co_u32_e32 v1, vcc, s6, v8
	v_addc_co_u32_e32 v0, vcc, v9, v0, vcc
	s_movk_i32 s6, 0xff1d
	v_and_or_b32 v2, v2, s6, 34
	s_mov_b32 s8, 0
	v_mov_b32_e32 v4, 0x7c
	v_readfirstlane_b32 s6, v1
	v_readfirstlane_b32 s7, v0
	s_mov_b32 s9, s8
	s_mov_b32 s10, s8
	;; [unrolled: 1-line block ×3, first 2 shown]
	s_nop 1
	global_store_dwordx4 v31, v[2:5], s[6:7]
	v_mov_b32_e32 v0, s8
	v_mov_b32_e32 v1, s9
	v_mov_b32_e32 v2, s10
	v_mov_b32_e32 v3, s11
	global_store_dwordx4 v31, v[0:3], s[6:7] offset:16
	global_store_dwordx4 v31, v[0:3], s[6:7] offset:32
	;; [unrolled: 1-line block ×3, first 2 shown]
	s_and_saveexec_b64 s[6:7], s[0:1]
	s_cbranch_execz .LBB8_403
; %bb.396:
	v_mov_b32_e32 v8, 0
	global_load_dwordx2 v[14:15], v8, s[2:3] offset:32 glc
	global_load_dwordx2 v[0:1], v8, s[2:3] offset:40
	v_mov_b32_e32 v12, s4
	v_mov_b32_e32 v13, s5
	s_waitcnt vmcnt(0)
	v_readfirstlane_b32 s8, v0
	v_readfirstlane_b32 s9, v1
	s_and_b64 s[8:9], s[8:9], s[4:5]
	s_mul_i32 s9, s9, 24
	s_mul_hi_u32 s10, s8, 24
	s_mul_i32 s8, s8, 24
	s_add_i32 s9, s10, s9
	v_mov_b32_e32 v0, s9
	v_add_co_u32_e32 v4, vcc, s8, v6
	v_addc_co_u32_e32 v5, vcc, v7, v0, vcc
	global_store_dwordx2 v[4:5], v[14:15], off
	s_waitcnt vmcnt(0)
	global_atomic_cmpswap_x2 v[2:3], v8, v[12:15], s[2:3] offset:32 glc
	s_waitcnt vmcnt(0)
	v_cmp_ne_u64_e32 vcc, v[2:3], v[14:15]
	s_and_saveexec_b64 s[8:9], vcc
	s_cbranch_execz .LBB8_399
; %bb.397:
	s_mov_b64 s[10:11], 0
.LBB8_398:                              ; =>This Inner Loop Header: Depth=1
	s_sleep 1
	global_store_dwordx2 v[4:5], v[2:3], off
	v_mov_b32_e32 v0, s4
	v_mov_b32_e32 v1, s5
	s_waitcnt vmcnt(0)
	global_atomic_cmpswap_x2 v[0:1], v8, v[0:3], s[2:3] offset:32 glc
	s_waitcnt vmcnt(0)
	v_cmp_eq_u64_e32 vcc, v[0:1], v[2:3]
	v_mov_b32_e32 v3, v1
	s_or_b64 s[10:11], vcc, s[10:11]
	v_mov_b32_e32 v2, v0
	s_andn2_b64 exec, exec, s[10:11]
	s_cbranch_execnz .LBB8_398
.LBB8_399:
	s_or_b64 exec, exec, s[8:9]
	v_mov_b32_e32 v3, 0
	global_load_dwordx2 v[0:1], v3, s[2:3] offset:16
	s_mov_b64 s[8:9], exec
	v_mbcnt_lo_u32_b32 v2, s8, 0
	v_mbcnt_hi_u32_b32 v2, s9, v2
	v_cmp_eq_u32_e32 vcc, 0, v2
	s_and_saveexec_b64 s[10:11], vcc
	s_cbranch_execz .LBB8_401
; %bb.400:
	s_bcnt1_i32_b64 s8, s[8:9]
	v_mov_b32_e32 v2, s8
	s_waitcnt vmcnt(0)
	global_atomic_add_x2 v[0:1], v[2:3], off offset:8
.LBB8_401:
	s_or_b64 exec, exec, s[10:11]
	s_waitcnt vmcnt(0)
	global_load_dwordx2 v[2:3], v[0:1], off offset:16
	s_waitcnt vmcnt(0)
	v_cmp_eq_u64_e32 vcc, 0, v[2:3]
	s_cbranch_vccnz .LBB8_403
; %bb.402:
	global_load_dword v0, v[0:1], off offset:24
	v_mov_b32_e32 v1, 0
	s_waitcnt vmcnt(0)
	v_readfirstlane_b32 s8, v0
	s_and_b32 m0, s8, 0xffffff
	global_store_dwordx2 v[2:3], v[0:1], off
	s_sendmsg sendmsg(MSG_INTERRUPT)
.LBB8_403:
	s_or_b64 exec, exec, s[6:7]
	s_branch .LBB8_407
.LBB8_404:                              ;   in Loop: Header=BB8_407 Depth=1
	s_or_b64 exec, exec, s[6:7]
	v_readfirstlane_b32 s6, v0
	s_cmp_eq_u32 s6, 0
	s_cbranch_scc1 .LBB8_406
; %bb.405:                              ;   in Loop: Header=BB8_407 Depth=1
	s_sleep 1
	s_cbranch_execnz .LBB8_407
	s_branch .LBB8_409
.LBB8_406:
	s_branch .LBB8_409
.LBB8_407:                              ; =>This Inner Loop Header: Depth=1
	v_mov_b32_e32 v0, 1
	s_and_saveexec_b64 s[6:7], s[0:1]
	s_cbranch_execz .LBB8_404
; %bb.408:                              ;   in Loop: Header=BB8_407 Depth=1
	global_load_dword v0, v[10:11], off offset:20 glc
	s_waitcnt vmcnt(0)
	buffer_wbinvl1_vol
	v_and_b32_e32 v0, 1, v0
	s_branch .LBB8_404
.LBB8_409:
	s_and_saveexec_b64 s[6:7], s[0:1]
	s_cbranch_execz .LBB8_412
; %bb.410:
	v_mov_b32_e32 v6, 0
	global_load_dwordx2 v[0:1], v6, s[2:3] offset:40
	global_load_dwordx2 v[9:10], v6, s[2:3] offset:24 glc
	global_load_dwordx2 v[2:3], v6, s[2:3]
	s_waitcnt vmcnt(2)
	v_readfirstlane_b32 s8, v0
	v_readfirstlane_b32 s9, v1
	s_add_u32 s10, s8, 1
	s_addc_u32 s11, s9, 0
	s_add_u32 s0, s10, s4
	s_addc_u32 s1, s11, s5
	s_cmp_eq_u64 s[0:1], 0
	s_cselect_b32 s1, s11, s1
	s_cselect_b32 s0, s10, s0
	s_and_b64 s[4:5], s[0:1], s[8:9]
	s_mul_i32 s5, s5, 24
	s_mul_hi_u32 s8, s4, 24
	s_mul_i32 s4, s4, 24
	s_add_i32 s5, s8, s5
	v_mov_b32_e32 v0, s5
	s_waitcnt vmcnt(0)
	v_add_co_u32_e32 v4, vcc, s4, v2
	v_addc_co_u32_e32 v5, vcc, v3, v0, vcc
	v_mov_b32_e32 v7, s0
	global_store_dwordx2 v[4:5], v[9:10], off
	v_mov_b32_e32 v8, s1
	s_waitcnt vmcnt(0)
	global_atomic_cmpswap_x2 v[2:3], v6, v[7:10], s[2:3] offset:24 glc
	s_mov_b64 s[4:5], 0
	s_waitcnt vmcnt(0)
	v_cmp_ne_u64_e32 vcc, v[2:3], v[9:10]
	s_and_b64 exec, exec, vcc
	s_cbranch_execz .LBB8_412
.LBB8_411:                              ; =>This Inner Loop Header: Depth=1
	s_sleep 1
	global_store_dwordx2 v[4:5], v[2:3], off
	v_mov_b32_e32 v0, s0
	v_mov_b32_e32 v1, s1
	s_waitcnt vmcnt(0)
	global_atomic_cmpswap_x2 v[0:1], v6, v[0:3], s[2:3] offset:24 glc
	s_waitcnt vmcnt(0)
	v_cmp_eq_u64_e32 vcc, v[0:1], v[2:3]
	v_mov_b32_e32 v3, v1
	s_or_b64 s[4:5], vcc, s[4:5]
	v_mov_b32_e32 v2, v0
	s_andn2_b64 exec, exec, s[4:5]
	s_cbranch_execnz .LBB8_411
.LBB8_412:
	s_or_b64 exec, exec, s[6:7]
	s_trap 2
	; divergent unreachable
	s_endpgm
	.section	.rodata,"a",@progbits
	.p2align	6, 0x0
	.amdhsa_kernel _ZN9rocsparseL38csr2csr_compress_use_warp_start_deviceILj256ELj64ELj2EdEEvi21rocsparse_index_base_PKT2_PKiS1_PS2_PiPKjS2_
		.amdhsa_group_segment_fixed_size 0
		.amdhsa_private_segment_fixed_size 0
		.amdhsa_kernarg_size 320
		.amdhsa_user_sgpr_count 6
		.amdhsa_user_sgpr_private_segment_buffer 1
		.amdhsa_user_sgpr_dispatch_ptr 0
		.amdhsa_user_sgpr_queue_ptr 0
		.amdhsa_user_sgpr_kernarg_segment_ptr 1
		.amdhsa_user_sgpr_dispatch_id 0
		.amdhsa_user_sgpr_flat_scratch_init 0
		.amdhsa_user_sgpr_private_segment_size 0
		.amdhsa_uses_dynamic_stack 0
		.amdhsa_system_sgpr_private_segment_wavefront_offset 0
		.amdhsa_system_sgpr_workgroup_id_x 1
		.amdhsa_system_sgpr_workgroup_id_y 0
		.amdhsa_system_sgpr_workgroup_id_z 0
		.amdhsa_system_sgpr_workgroup_info 0
		.amdhsa_system_vgpr_workitem_id 0
		.amdhsa_next_free_vgpr 34
		.amdhsa_next_free_sgpr 29
		.amdhsa_reserve_vcc 1
		.amdhsa_reserve_flat_scratch 0
		.amdhsa_float_round_mode_32 0
		.amdhsa_float_round_mode_16_64 0
		.amdhsa_float_denorm_mode_32 3
		.amdhsa_float_denorm_mode_16_64 3
		.amdhsa_dx10_clamp 1
		.amdhsa_ieee_mode 1
		.amdhsa_fp16_overflow 0
		.amdhsa_exception_fp_ieee_invalid_op 0
		.amdhsa_exception_fp_denorm_src 0
		.amdhsa_exception_fp_ieee_div_zero 0
		.amdhsa_exception_fp_ieee_overflow 0
		.amdhsa_exception_fp_ieee_underflow 0
		.amdhsa_exception_fp_ieee_inexact 0
		.amdhsa_exception_int_div_zero 0
	.end_amdhsa_kernel
	.section	.text._ZN9rocsparseL38csr2csr_compress_use_warp_start_deviceILj256ELj64ELj2EdEEvi21rocsparse_index_base_PKT2_PKiS1_PS2_PiPKjS2_,"axG",@progbits,_ZN9rocsparseL38csr2csr_compress_use_warp_start_deviceILj256ELj64ELj2EdEEvi21rocsparse_index_base_PKT2_PKiS1_PS2_PiPKjS2_,comdat
.Lfunc_end8:
	.size	_ZN9rocsparseL38csr2csr_compress_use_warp_start_deviceILj256ELj64ELj2EdEEvi21rocsparse_index_base_PKT2_PKiS1_PS2_PiPKjS2_, .Lfunc_end8-_ZN9rocsparseL38csr2csr_compress_use_warp_start_deviceILj256ELj64ELj2EdEEvi21rocsparse_index_base_PKT2_PKiS1_PS2_PiPKjS2_
                                        ; -- End function
	.set _ZN9rocsparseL38csr2csr_compress_use_warp_start_deviceILj256ELj64ELj2EdEEvi21rocsparse_index_base_PKT2_PKiS1_PS2_PiPKjS2_.num_vgpr, 34
	.set _ZN9rocsparseL38csr2csr_compress_use_warp_start_deviceILj256ELj64ELj2EdEEvi21rocsparse_index_base_PKT2_PKiS1_PS2_PiPKjS2_.num_agpr, 0
	.set _ZN9rocsparseL38csr2csr_compress_use_warp_start_deviceILj256ELj64ELj2EdEEvi21rocsparse_index_base_PKT2_PKiS1_PS2_PiPKjS2_.numbered_sgpr, 29
	.set _ZN9rocsparseL38csr2csr_compress_use_warp_start_deviceILj256ELj64ELj2EdEEvi21rocsparse_index_base_PKT2_PKiS1_PS2_PiPKjS2_.num_named_barrier, 0
	.set _ZN9rocsparseL38csr2csr_compress_use_warp_start_deviceILj256ELj64ELj2EdEEvi21rocsparse_index_base_PKT2_PKiS1_PS2_PiPKjS2_.private_seg_size, 0
	.set _ZN9rocsparseL38csr2csr_compress_use_warp_start_deviceILj256ELj64ELj2EdEEvi21rocsparse_index_base_PKT2_PKiS1_PS2_PiPKjS2_.uses_vcc, 1
	.set _ZN9rocsparseL38csr2csr_compress_use_warp_start_deviceILj256ELj64ELj2EdEEvi21rocsparse_index_base_PKT2_PKiS1_PS2_PiPKjS2_.uses_flat_scratch, 0
	.set _ZN9rocsparseL38csr2csr_compress_use_warp_start_deviceILj256ELj64ELj2EdEEvi21rocsparse_index_base_PKT2_PKiS1_PS2_PiPKjS2_.has_dyn_sized_stack, 0
	.set _ZN9rocsparseL38csr2csr_compress_use_warp_start_deviceILj256ELj64ELj2EdEEvi21rocsparse_index_base_PKT2_PKiS1_PS2_PiPKjS2_.has_recursion, 0
	.set _ZN9rocsparseL38csr2csr_compress_use_warp_start_deviceILj256ELj64ELj2EdEEvi21rocsparse_index_base_PKT2_PKiS1_PS2_PiPKjS2_.has_indirect_call, 0
	.section	.AMDGPU.csdata,"",@progbits
; Kernel info:
; codeLenInByte = 13740
; TotalNumSgprs: 33
; NumVgprs: 34
; ScratchSize: 0
; MemoryBound: 0
; FloatMode: 240
; IeeeMode: 1
; LDSByteSize: 0 bytes/workgroup (compile time only)
; SGPRBlocks: 4
; VGPRBlocks: 8
; NumSGPRsForWavesPerEU: 33
; NumVGPRsForWavesPerEU: 34
; Occupancy: 7
; WaveLimiterHint : 1
; COMPUTE_PGM_RSRC2:SCRATCH_EN: 0
; COMPUTE_PGM_RSRC2:USER_SGPR: 6
; COMPUTE_PGM_RSRC2:TRAP_HANDLER: 0
; COMPUTE_PGM_RSRC2:TGID_X_EN: 1
; COMPUTE_PGM_RSRC2:TGID_Y_EN: 0
; COMPUTE_PGM_RSRC2:TGID_Z_EN: 0
; COMPUTE_PGM_RSRC2:TIDIG_COMP_CNT: 0
	.section	.text._ZN9rocsparseL39csr2csr_compress_fill_warp_start_deviceILj256ELj32ELj2E21rocsparse_complex_numIfEEEviPKT2_PjS3_,"axG",@progbits,_ZN9rocsparseL39csr2csr_compress_fill_warp_start_deviceILj256ELj32ELj2E21rocsparse_complex_numIfEEEviPKT2_PjS3_,comdat
	.globl	_ZN9rocsparseL39csr2csr_compress_fill_warp_start_deviceILj256ELj32ELj2E21rocsparse_complex_numIfEEEviPKT2_PjS3_ ; -- Begin function _ZN9rocsparseL39csr2csr_compress_fill_warp_start_deviceILj256ELj32ELj2E21rocsparse_complex_numIfEEEviPKT2_PjS3_
	.p2align	8
	.type	_ZN9rocsparseL39csr2csr_compress_fill_warp_start_deviceILj256ELj32ELj2E21rocsparse_complex_numIfEEEviPKT2_PjS3_,@function
_ZN9rocsparseL39csr2csr_compress_fill_warp_start_deviceILj256ELj32ELj2E21rocsparse_complex_numIfEEEviPKT2_PjS3_: ; @_ZN9rocsparseL39csr2csr_compress_fill_warp_start_deviceILj256ELj32ELj2E21rocsparse_complex_numIfEEEviPKT2_PjS3_
; %bb.0:
	s_load_dwordx4 s[8:11], s[4:5], 0x8
	v_lshl_or_b32 v2, s6, 9, v0
	v_cmp_eq_u32_e32 vcc, 0, v2
	s_and_saveexec_b64 s[0:1], vcc
	s_cbranch_execz .LBB9_2
; %bb.1:
	v_mov_b32_e32 v1, 0
	s_waitcnt lgkmcnt(0)
	global_store_dword v1, v1, s[10:11]
.LBB9_2:
	s_or_b64 exec, exec, s[0:1]
	s_load_dword s16, s[4:5], 0x0
	s_load_dword s19, s[4:5], 0x18
	v_lshrrev_b32_e32 v0, 5, v0
	v_lshl_or_b32 v0, s6, 4, v0
	s_mov_b64 s[6:7], 0
	s_waitcnt lgkmcnt(0)
	s_add_i32 s0, s16, -1
	v_cmp_gt_i32_e32 vcc, s16, v2
	s_lshr_b32 s18, s0, 5
	s_mov_b64 s[0:1], -1
	s_and_saveexec_b64 s[12:13], vcc
	s_cbranch_execnz .LBB9_6
; %bb.3:
	s_or_b64 exec, exec, s[12:13]
	s_and_saveexec_b64 s[12:13], s[0:1]
	s_cbranch_execnz .LBB9_23
.LBB9_4:
	s_or_b64 exec, exec, s[12:13]
	s_and_saveexec_b64 s[0:1], s[6:7]
	s_xor_b64 s[0:1], exec, s[0:1]
	s_cbranch_execnz .LBB9_42
.LBB9_5:
	s_endpgm
.LBB9_6:
	v_ashrrev_i32_e32 v3, 31, v2
	v_lshlrev_b64 v[3:4], 3, v[2:3]
	v_mov_b32_e32 v1, s9
	v_add_co_u32_e32 v3, vcc, s8, v3
	v_addc_co_u32_e32 v4, vcc, v1, v4, vcc
	global_load_dwordx2 v[3:4], v[3:4], off glc slc
                                        ; implicit-def: $vgpr5
	s_waitcnt vmcnt(0)
	v_cmp_gt_f32_e32 vcc, 0, v3
	v_cndmask_b32_e64 v1, v3, -v3, vcc
	v_cmp_gt_f32_e32 vcc, 0, v4
	v_cndmask_b32_e64 v3, v4, -v4, vcc
	v_cmp_ngt_f32_e64 s[0:1], v1, v3
	s_and_saveexec_b64 s[2:3], s[0:1]
	s_xor_b64 s[6:7], exec, s[2:3]
	s_cbranch_execz .LBB9_10
; %bb.7:
	v_mov_b32_e32 v5, 0
	v_cmp_neq_f32_e32 vcc, 0, v4
	s_and_saveexec_b64 s[14:15], vcc
	s_cbranch_execz .LBB9_9
; %bb.8:
	v_div_scale_f32 v5, s[2:3], v3, v3, v1
	v_div_scale_f32 v6, vcc, v1, v3, v1
	s_mov_b32 s2, 0xf800000
	v_rcp_f32_e32 v7, v5
	v_fma_f32 v8, -v5, v7, 1.0
	v_fmac_f32_e32 v7, v8, v7
	v_mul_f32_e32 v8, v6, v7
	v_fma_f32 v9, -v5, v8, v6
	v_fmac_f32_e32 v8, v9, v7
	v_fma_f32 v5, -v5, v8, v6
	v_div_fmas_f32 v5, v5, v7, v8
	v_mov_b32_e32 v7, 0x260
	v_div_fixup_f32 v5, v5, v3, v1
	v_fma_f32 v5, v5, v5, 1.0
	v_mul_f32_e32 v6, 0x4f800000, v5
	v_cmp_gt_f32_e32 vcc, s2, v5
	v_cndmask_b32_e32 v5, v5, v6, vcc
	v_sqrt_f32_e32 v6, v5
	v_add_u32_e32 v8, -1, v6
	v_add_u32_e32 v9, 1, v6
	v_fma_f32 v10, -v8, v6, v5
	v_fma_f32 v11, -v9, v6, v5
	v_cmp_ge_f32_e64 s[2:3], 0, v10
	v_cndmask_b32_e64 v6, v6, v8, s[2:3]
	v_cmp_lt_f32_e64 s[2:3], 0, v11
	v_cndmask_b32_e64 v6, v6, v9, s[2:3]
	v_mul_f32_e32 v8, 0x37800000, v6
	v_cndmask_b32_e32 v6, v6, v8, vcc
	v_cmp_class_f32_e32 vcc, v5, v7
	v_cndmask_b32_e32 v5, v6, v5, vcc
	v_mul_f32_e32 v5, v3, v5
.LBB9_9:
	s_or_b64 exec, exec, s[14:15]
.LBB9_10:
	s_andn2_saveexec_b64 s[6:7], s[6:7]
	s_cbranch_execz .LBB9_12
; %bb.11:
	v_div_scale_f32 v5, s[2:3], v1, v1, v3
	v_div_scale_f32 v6, vcc, v3, v1, v3
	s_mov_b32 s2, 0xf800000
	v_rcp_f32_e32 v7, v5
	v_fma_f32 v8, -v5, v7, 1.0
	v_fmac_f32_e32 v7, v8, v7
	v_mul_f32_e32 v8, v6, v7
	v_fma_f32 v9, -v5, v8, v6
	v_fmac_f32_e32 v8, v9, v7
	v_fma_f32 v5, -v5, v8, v6
	v_div_fmas_f32 v5, v5, v7, v8
	v_mov_b32_e32 v7, 0x260
	v_div_fixup_f32 v5, v5, v1, v3
	v_fma_f32 v5, v5, v5, 1.0
	v_mul_f32_e32 v6, 0x4f800000, v5
	v_cmp_gt_f32_e32 vcc, s2, v5
	v_cndmask_b32_e32 v5, v5, v6, vcc
	v_sqrt_f32_e32 v6, v5
	v_add_u32_e32 v8, -1, v6
	v_add_u32_e32 v9, 1, v6
	v_fma_f32 v10, -v8, v6, v5
	v_fma_f32 v11, -v9, v6, v5
	v_cmp_ge_f32_e64 s[2:3], 0, v10
	v_cndmask_b32_e64 v6, v6, v8, s[2:3]
	v_cmp_lt_f32_e64 s[2:3], 0, v11
	v_cndmask_b32_e64 v6, v6, v9, s[2:3]
	v_mul_f32_e32 v8, 0x37800000, v6
	v_cndmask_b32_e32 v6, v6, v8, vcc
	v_cmp_class_f32_e32 vcc, v5, v7
	v_cndmask_b32_e32 v5, v6, v5, vcc
	v_mul_f32_e32 v5, v1, v5
.LBB9_12:
	s_or_b64 exec, exec, s[6:7]
	v_cmp_lt_f32_e32 vcc, s19, v5
	s_mov_b64 s[6:7], 0
	s_and_saveexec_b64 s[2:3], vcc
	s_cbranch_execz .LBB9_20
; %bb.13:
                                        ; implicit-def: $vgpr5
	s_and_saveexec_b64 s[6:7], s[0:1]
	s_xor_b64 s[6:7], exec, s[6:7]
	s_cbranch_execz .LBB9_17
; %bb.14:
	v_mov_b32_e32 v5, 0
	v_cmp_neq_f32_e32 vcc, 0, v4
	s_and_saveexec_b64 s[14:15], vcc
	s_cbranch_execz .LBB9_16
; %bb.15:
	v_div_scale_f32 v4, s[0:1], v3, v3, v1
	v_div_scale_f32 v5, vcc, v1, v3, v1
	s_mov_b32 s0, 0xf800000
	v_rcp_f32_e32 v6, v4
	v_fma_f32 v7, -v4, v6, 1.0
	v_fmac_f32_e32 v6, v7, v6
	v_mul_f32_e32 v7, v5, v6
	v_fma_f32 v8, -v4, v7, v5
	v_fmac_f32_e32 v7, v8, v6
	v_fma_f32 v4, -v4, v7, v5
	v_div_fmas_f32 v4, v4, v6, v7
	v_mov_b32_e32 v5, 0x260
	v_div_fixup_f32 v1, v4, v3, v1
	v_fma_f32 v1, v1, v1, 1.0
	v_mul_f32_e32 v4, 0x4f800000, v1
	v_cmp_gt_f32_e32 vcc, s0, v1
	v_cndmask_b32_e32 v1, v1, v4, vcc
	v_sqrt_f32_e32 v4, v1
	v_add_u32_e32 v6, -1, v4
	v_add_u32_e32 v7, 1, v4
	v_fma_f32 v8, -v6, v4, v1
	v_fma_f32 v9, -v7, v4, v1
	v_cmp_ge_f32_e64 s[0:1], 0, v8
	v_cndmask_b32_e64 v4, v4, v6, s[0:1]
	v_cmp_lt_f32_e64 s[0:1], 0, v9
	v_cndmask_b32_e64 v4, v4, v7, s[0:1]
	v_mul_f32_e32 v6, 0x37800000, v4
	v_cndmask_b32_e32 v4, v4, v6, vcc
	v_cmp_class_f32_e32 vcc, v1, v5
	v_cndmask_b32_e32 v1, v4, v1, vcc
	v_mul_f32_e32 v5, v3, v1
.LBB9_16:
	s_or_b64 exec, exec, s[14:15]
                                        ; implicit-def: $vgpr1
                                        ; implicit-def: $vgpr3
.LBB9_17:
	s_andn2_saveexec_b64 s[6:7], s[6:7]
	s_cbranch_execz .LBB9_19
; %bb.18:
	v_div_scale_f32 v4, s[0:1], v1, v1, v3
	v_div_scale_f32 v5, vcc, v3, v1, v3
	s_mov_b32 s0, 0xf800000
	v_rcp_f32_e32 v6, v4
	v_fma_f32 v7, -v4, v6, 1.0
	v_fmac_f32_e32 v6, v7, v6
	v_mul_f32_e32 v7, v5, v6
	v_fma_f32 v8, -v4, v7, v5
	v_fmac_f32_e32 v7, v8, v6
	v_fma_f32 v4, -v4, v7, v5
	v_div_fmas_f32 v4, v4, v6, v7
	v_mov_b32_e32 v5, 0x260
	v_div_fixup_f32 v3, v4, v1, v3
	v_fma_f32 v3, v3, v3, 1.0
	v_mul_f32_e32 v4, 0x4f800000, v3
	v_cmp_gt_f32_e32 vcc, s0, v3
	v_cndmask_b32_e32 v3, v3, v4, vcc
	v_sqrt_f32_e32 v4, v3
	v_add_u32_e32 v6, -1, v4
	v_add_u32_e32 v7, 1, v4
	v_fma_f32 v8, -v6, v4, v3
	v_fma_f32 v9, -v7, v4, v3
	v_cmp_ge_f32_e64 s[0:1], 0, v8
	v_cndmask_b32_e64 v4, v4, v6, s[0:1]
	v_cmp_lt_f32_e64 s[0:1], 0, v9
	v_cndmask_b32_e64 v4, v4, v7, s[0:1]
	v_mul_f32_e32 v6, 0x37800000, v4
	v_cndmask_b32_e32 v4, v4, v6, vcc
	v_cmp_class_f32_e32 vcc, v3, v5
	v_cndmask_b32_e32 v3, v4, v3, vcc
	v_mul_f32_e32 v5, v1, v3
.LBB9_19:
	s_or_b64 exec, exec, s[6:7]
	s_mov_b32 s0, 0x800000
	v_cmp_lt_f32_e32 vcc, s0, v5
	s_and_b64 s[6:7], vcc, exec
.LBB9_20:
	s_or_b64 exec, exec, s[2:3]
	v_cndmask_b32_e64 v1, 0, 1, s[6:7]
	v_cmp_ne_u32_e32 vcc, 0, v1
	v_cmp_ge_u32_e64 s[0:1], s18, v0
	s_mov_b64 s[2:3], 0
	s_mov_b64 s[14:15], -1
	s_and_saveexec_b64 s[6:7], s[0:1]
	s_cbranch_execz .LBB9_22
; %bb.21:
	v_mov_b32_e32 v1, 0
	v_lshlrev_b64 v[3:4], 2, v[0:1]
	s_bcnt1_i32_b64 s0, vcc
	v_mov_b32_e32 v1, s11
	v_add_co_u32_e32 v3, vcc, s10, v3
	s_mov_b64 s[2:3], exec
	v_addc_co_u32_e32 v4, vcc, v1, v4, vcc
	v_mov_b32_e32 v1, s0
	s_xor_b64 s[14:15], exec, -1
	global_store_dword v[3:4], v1, off offset:4
.LBB9_22:
	s_or_b64 exec, exec, s[6:7]
	s_and_b64 s[6:7], s[14:15], exec
	s_orn2_b64 s[0:1], s[2:3], exec
	s_or_b64 exec, exec, s[12:13]
	s_and_saveexec_b64 s[12:13], s[0:1]
	s_cbranch_execz .LBB9_4
.LBB9_23:
	v_add_u32_e32 v1, 0x100, v2
	v_cmp_gt_i32_e32 vcc, s16, v1
	s_mov_b64 s[0:1], s[6:7]
	s_and_saveexec_b64 s[14:15], vcc
	s_cbranch_execz .LBB9_41
; %bb.24:
	v_ashrrev_i32_e32 v3, 31, v2
	v_lshlrev_b64 v[1:2], 3, v[2:3]
	v_mov_b32_e32 v3, s9
	v_add_co_u32_e32 v1, vcc, s8, v1
	v_addc_co_u32_e32 v2, vcc, v3, v2, vcc
	global_load_dwordx2 v[1:2], v[1:2], off offset:2048 glc slc
                                        ; implicit-def: $vgpr4
	s_waitcnt vmcnt(0)
	v_cmp_gt_f32_e32 vcc, 0, v1
	v_cndmask_b32_e64 v1, v1, -v1, vcc
	v_cmp_gt_f32_e32 vcc, 0, v2
	v_cndmask_b32_e64 v3, v2, -v2, vcc
	v_cmp_ngt_f32_e64 s[0:1], v1, v3
	s_and_saveexec_b64 s[2:3], s[0:1]
	s_xor_b64 s[8:9], exec, s[2:3]
	s_cbranch_execz .LBB9_28
; %bb.25:
	v_mov_b32_e32 v4, 0
	v_cmp_neq_f32_e32 vcc, 0, v2
	s_and_saveexec_b64 s[16:17], vcc
	s_cbranch_execz .LBB9_27
; %bb.26:
	v_div_scale_f32 v4, s[2:3], v3, v3, v1
	v_div_scale_f32 v5, vcc, v1, v3, v1
	s_mov_b32 s2, 0xf800000
	v_rcp_f32_e32 v6, v4
	v_fma_f32 v7, -v4, v6, 1.0
	v_fmac_f32_e32 v6, v7, v6
	v_mul_f32_e32 v7, v5, v6
	v_fma_f32 v8, -v4, v7, v5
	v_fmac_f32_e32 v7, v8, v6
	v_fma_f32 v4, -v4, v7, v5
	v_div_fmas_f32 v4, v4, v6, v7
	v_mov_b32_e32 v6, 0x260
	v_div_fixup_f32 v4, v4, v3, v1
	v_fma_f32 v4, v4, v4, 1.0
	v_mul_f32_e32 v5, 0x4f800000, v4
	v_cmp_gt_f32_e32 vcc, s2, v4
	v_cndmask_b32_e32 v4, v4, v5, vcc
	v_sqrt_f32_e32 v5, v4
	v_add_u32_e32 v7, -1, v5
	v_add_u32_e32 v8, 1, v5
	v_fma_f32 v9, -v7, v5, v4
	v_fma_f32 v10, -v8, v5, v4
	v_cmp_ge_f32_e64 s[2:3], 0, v9
	v_cndmask_b32_e64 v5, v5, v7, s[2:3]
	v_cmp_lt_f32_e64 s[2:3], 0, v10
	v_cndmask_b32_e64 v5, v5, v8, s[2:3]
	v_mul_f32_e32 v7, 0x37800000, v5
	v_cndmask_b32_e32 v5, v5, v7, vcc
	v_cmp_class_f32_e32 vcc, v4, v6
	v_cndmask_b32_e32 v4, v5, v4, vcc
	v_mul_f32_e32 v4, v3, v4
.LBB9_27:
	s_or_b64 exec, exec, s[16:17]
.LBB9_28:
	s_andn2_saveexec_b64 s[8:9], s[8:9]
	s_cbranch_execz .LBB9_30
; %bb.29:
	v_div_scale_f32 v4, s[2:3], v1, v1, v3
	v_div_scale_f32 v5, vcc, v3, v1, v3
	s_mov_b32 s2, 0xf800000
	v_rcp_f32_e32 v6, v4
	v_fma_f32 v7, -v4, v6, 1.0
	v_fmac_f32_e32 v6, v7, v6
	v_mul_f32_e32 v7, v5, v6
	v_fma_f32 v8, -v4, v7, v5
	v_fmac_f32_e32 v7, v8, v6
	v_fma_f32 v4, -v4, v7, v5
	v_div_fmas_f32 v4, v4, v6, v7
	v_mov_b32_e32 v6, 0x260
	v_div_fixup_f32 v4, v4, v1, v3
	v_fma_f32 v4, v4, v4, 1.0
	v_mul_f32_e32 v5, 0x4f800000, v4
	v_cmp_gt_f32_e32 vcc, s2, v4
	v_cndmask_b32_e32 v4, v4, v5, vcc
	v_sqrt_f32_e32 v5, v4
	v_add_u32_e32 v7, -1, v5
	v_add_u32_e32 v8, 1, v5
	v_fma_f32 v9, -v7, v5, v4
	v_fma_f32 v10, -v8, v5, v4
	v_cmp_ge_f32_e64 s[2:3], 0, v9
	v_cndmask_b32_e64 v5, v5, v7, s[2:3]
	v_cmp_lt_f32_e64 s[2:3], 0, v10
	v_cndmask_b32_e64 v5, v5, v8, s[2:3]
	v_mul_f32_e32 v7, 0x37800000, v5
	v_cndmask_b32_e32 v5, v5, v7, vcc
	v_cmp_class_f32_e32 vcc, v4, v6
	v_cndmask_b32_e32 v4, v5, v4, vcc
	v_mul_f32_e32 v4, v1, v4
.LBB9_30:
	s_or_b64 exec, exec, s[8:9]
	v_cmp_lt_f32_e32 vcc, s19, v4
	s_mov_b64 s[8:9], 0
	s_and_saveexec_b64 s[2:3], vcc
	s_cbranch_execz .LBB9_38
; %bb.31:
                                        ; implicit-def: $vgpr4
	s_and_saveexec_b64 s[8:9], s[0:1]
	s_xor_b64 s[8:9], exec, s[8:9]
	s_cbranch_execz .LBB9_35
; %bb.32:
	v_mov_b32_e32 v4, 0
	v_cmp_neq_f32_e32 vcc, 0, v2
	s_and_saveexec_b64 s[16:17], vcc
	s_cbranch_execz .LBB9_34
; %bb.33:
	v_div_scale_f32 v2, s[0:1], v3, v3, v1
	v_div_scale_f32 v4, vcc, v1, v3, v1
	s_mov_b32 s0, 0xf800000
	v_rcp_f32_e32 v5, v2
	v_fma_f32 v6, -v2, v5, 1.0
	v_fmac_f32_e32 v5, v6, v5
	v_mul_f32_e32 v6, v4, v5
	v_fma_f32 v7, -v2, v6, v4
	v_fmac_f32_e32 v6, v7, v5
	v_fma_f32 v2, -v2, v6, v4
	v_div_fmas_f32 v2, v2, v5, v6
	v_mov_b32_e32 v4, 0x260
	v_div_fixup_f32 v1, v2, v3, v1
	v_fma_f32 v1, v1, v1, 1.0
	v_mul_f32_e32 v2, 0x4f800000, v1
	v_cmp_gt_f32_e32 vcc, s0, v1
	v_cndmask_b32_e32 v1, v1, v2, vcc
	v_sqrt_f32_e32 v2, v1
	v_add_u32_e32 v5, -1, v2
	v_add_u32_e32 v6, 1, v2
	v_fma_f32 v7, -v5, v2, v1
	v_fma_f32 v8, -v6, v2, v1
	v_cmp_ge_f32_e64 s[0:1], 0, v7
	v_cndmask_b32_e64 v2, v2, v5, s[0:1]
	v_cmp_lt_f32_e64 s[0:1], 0, v8
	v_cndmask_b32_e64 v2, v2, v6, s[0:1]
	v_mul_f32_e32 v5, 0x37800000, v2
	v_cndmask_b32_e32 v2, v2, v5, vcc
	v_cmp_class_f32_e32 vcc, v1, v4
	v_cndmask_b32_e32 v1, v2, v1, vcc
	v_mul_f32_e32 v4, v3, v1
.LBB9_34:
	s_or_b64 exec, exec, s[16:17]
                                        ; implicit-def: $vgpr1
                                        ; implicit-def: $vgpr3
.LBB9_35:
	s_andn2_saveexec_b64 s[8:9], s[8:9]
	s_cbranch_execz .LBB9_37
; %bb.36:
	v_div_scale_f32 v2, s[0:1], v1, v1, v3
	v_div_scale_f32 v4, vcc, v3, v1, v3
	s_mov_b32 s0, 0xf800000
	v_rcp_f32_e32 v5, v2
	v_fma_f32 v6, -v2, v5, 1.0
	v_fmac_f32_e32 v5, v6, v5
	v_mul_f32_e32 v6, v4, v5
	v_fma_f32 v7, -v2, v6, v4
	v_fmac_f32_e32 v6, v7, v5
	v_fma_f32 v2, -v2, v6, v4
	v_div_fmas_f32 v2, v2, v5, v6
	v_mov_b32_e32 v4, 0x260
	v_div_fixup_f32 v2, v2, v1, v3
	v_fma_f32 v2, v2, v2, 1.0
	v_mul_f32_e32 v3, 0x4f800000, v2
	v_cmp_gt_f32_e32 vcc, s0, v2
	v_cndmask_b32_e32 v2, v2, v3, vcc
	v_sqrt_f32_e32 v3, v2
	v_add_u32_e32 v5, -1, v3
	v_add_u32_e32 v6, 1, v3
	v_fma_f32 v7, -v5, v3, v2
	v_fma_f32 v8, -v6, v3, v2
	v_cmp_ge_f32_e64 s[0:1], 0, v7
	v_cndmask_b32_e64 v3, v3, v5, s[0:1]
	v_cmp_lt_f32_e64 s[0:1], 0, v8
	v_cndmask_b32_e64 v3, v3, v6, s[0:1]
	v_mul_f32_e32 v5, 0x37800000, v3
	v_cndmask_b32_e32 v3, v3, v5, vcc
	v_cmp_class_f32_e32 vcc, v2, v4
	v_cndmask_b32_e32 v2, v3, v2, vcc
	v_mul_f32_e32 v4, v1, v2
.LBB9_37:
	s_or_b64 exec, exec, s[8:9]
	s_mov_b32 s0, 0x800000
	v_cmp_lt_f32_e32 vcc, s0, v4
	s_and_b64 s[8:9], vcc, exec
.LBB9_38:
	s_or_b64 exec, exec, s[2:3]
	v_cndmask_b32_e64 v1, 0, 1, s[8:9]
	v_add_u32_e32 v0, 8, v0
	v_cmp_ne_u32_e32 vcc, 0, v1
	v_cmp_ge_u32_e64 s[0:1], s18, v0
	s_mov_b64 s[2:3], -1
	s_and_saveexec_b64 s[8:9], s[0:1]
	s_xor_b64 s[0:1], exec, s[8:9]
	s_cbranch_execz .LBB9_40
; %bb.39:
	v_mov_b32_e32 v1, 0
	v_lshlrev_b64 v[0:1], 2, v[0:1]
	s_bcnt1_i32_b64 s2, vcc
	v_mov_b32_e32 v2, s11
	v_add_co_u32_e32 v0, vcc, s10, v0
	v_addc_co_u32_e32 v1, vcc, v2, v1, vcc
	v_mov_b32_e32 v2, s2
	s_xor_b64 s[2:3], exec, -1
	global_store_dword v[0:1], v2, off offset:4
.LBB9_40:
	s_or_b64 exec, exec, s[0:1]
	s_andn2_b64 s[0:1], s[6:7], exec
	s_and_b64 s[2:3], s[2:3], exec
	s_or_b64 s[0:1], s[0:1], s[2:3]
.LBB9_41:
	s_or_b64 exec, exec, s[14:15]
	s_andn2_b64 s[2:3], s[6:7], exec
	s_and_b64 s[0:1], s[0:1], exec
	s_or_b64 s[6:7], s[2:3], s[0:1]
	s_or_b64 exec, exec, s[12:13]
	s_and_saveexec_b64 s[0:1], s[6:7]
	s_xor_b64 s[0:1], exec, s[0:1]
	s_cbranch_execz .LBB9_5
.LBB9_42:
	s_load_dwordx2 s[2:3], s[4:5], 0x70
	v_mbcnt_lo_u32_b32 v0, -1, 0
	v_mbcnt_hi_u32_b32 v32, -1, v0
	v_readfirstlane_b32 s0, v32
	v_mov_b32_e32 v5, 0
	v_mov_b32_e32 v6, 0
	v_cmp_eq_u32_e64 s[0:1], s0, v32
	s_and_saveexec_b64 s[4:5], s[0:1]
	s_cbranch_execz .LBB9_48
; %bb.43:
	v_mov_b32_e32 v0, 0
	s_waitcnt lgkmcnt(0)
	global_load_dwordx2 v[3:4], v0, s[2:3] offset:24 glc
	s_waitcnt vmcnt(0)
	buffer_wbinvl1_vol
	global_load_dwordx2 v[1:2], v0, s[2:3] offset:40
	global_load_dwordx2 v[5:6], v0, s[2:3]
	s_waitcnt vmcnt(1)
	v_and_b32_e32 v1, v1, v3
	v_and_b32_e32 v2, v2, v4
	v_mul_lo_u32 v2, v2, 24
	v_mul_hi_u32 v7, v1, 24
	v_mul_lo_u32 v1, v1, 24
	v_add_u32_e32 v2, v7, v2
	s_waitcnt vmcnt(0)
	v_add_co_u32_e32 v1, vcc, v5, v1
	v_addc_co_u32_e32 v2, vcc, v6, v2, vcc
	global_load_dwordx2 v[1:2], v[1:2], off glc
	s_waitcnt vmcnt(0)
	global_atomic_cmpswap_x2 v[5:6], v0, v[1:4], s[2:3] offset:24 glc
	s_waitcnt vmcnt(0)
	buffer_wbinvl1_vol
	v_cmp_ne_u64_e32 vcc, v[5:6], v[3:4]
	s_and_saveexec_b64 s[6:7], vcc
	s_cbranch_execz .LBB9_47
; %bb.44:
	s_mov_b64 s[8:9], 0
.LBB9_45:                               ; =>This Inner Loop Header: Depth=1
	s_sleep 1
	global_load_dwordx2 v[1:2], v0, s[2:3] offset:40
	global_load_dwordx2 v[7:8], v0, s[2:3]
	v_mov_b32_e32 v3, v5
	v_mov_b32_e32 v4, v6
	s_waitcnt vmcnt(1)
	v_and_b32_e32 v1, v1, v3
	s_waitcnt vmcnt(0)
	v_mad_u64_u32 v[5:6], s[10:11], v1, 24, v[7:8]
	v_and_b32_e32 v2, v2, v4
	v_mov_b32_e32 v1, v6
	v_mad_u64_u32 v[1:2], s[10:11], v2, 24, v[1:2]
	v_mov_b32_e32 v6, v1
	global_load_dwordx2 v[1:2], v[5:6], off glc
	s_waitcnt vmcnt(0)
	global_atomic_cmpswap_x2 v[5:6], v0, v[1:4], s[2:3] offset:24 glc
	s_waitcnt vmcnt(0)
	buffer_wbinvl1_vol
	v_cmp_eq_u64_e32 vcc, v[5:6], v[3:4]
	s_or_b64 s[8:9], vcc, s[8:9]
	s_andn2_b64 exec, exec, s[8:9]
	s_cbranch_execnz .LBB9_45
; %bb.46:
	s_or_b64 exec, exec, s[8:9]
.LBB9_47:
	s_or_b64 exec, exec, s[6:7]
.LBB9_48:
	s_or_b64 exec, exec, s[4:5]
	v_mov_b32_e32 v4, 0
	s_waitcnt lgkmcnt(0)
	global_load_dwordx2 v[7:8], v4, s[2:3] offset:40
	global_load_dwordx4 v[0:3], v4, s[2:3]
	v_readfirstlane_b32 s5, v6
	v_readfirstlane_b32 s4, v5
	s_mov_b64 s[6:7], exec
	s_waitcnt vmcnt(1)
	v_readfirstlane_b32 s8, v7
	v_readfirstlane_b32 s9, v8
	s_and_b64 s[8:9], s[8:9], s[4:5]
	s_mul_i32 s10, s9, 24
	s_mul_hi_u32 s11, s8, 24
	s_mul_i32 s12, s8, 24
	s_add_i32 s10, s11, s10
	v_mov_b32_e32 v5, s10
	s_waitcnt vmcnt(0)
	v_add_co_u32_e32 v7, vcc, s12, v0
	v_addc_co_u32_e32 v8, vcc, v1, v5, vcc
	s_and_saveexec_b64 s[10:11], s[0:1]
	s_cbranch_execz .LBB9_50
; %bb.49:
	v_mov_b32_e32 v10, s7
	v_mov_b32_e32 v9, s6
	;; [unrolled: 1-line block ×4, first 2 shown]
	global_store_dwordx4 v[7:8], v[9:12], off offset:8
.LBB9_50:
	s_or_b64 exec, exec, s[10:11]
	s_lshl_b64 s[6:7], s[8:9], 12
	v_mov_b32_e32 v5, s7
	v_add_co_u32_e32 v2, vcc, s6, v2
	v_addc_co_u32_e32 v11, vcc, v3, v5, vcc
	v_lshlrev_b32_e32 v31, 6, v32
	s_mov_b32 s8, 0
	v_mov_b32_e32 v3, 33
	v_mov_b32_e32 v5, v4
	;; [unrolled: 1-line block ×3, first 2 shown]
	v_readfirstlane_b32 s6, v2
	v_readfirstlane_b32 s7, v11
	v_add_co_u32_e32 v9, vcc, v2, v31
	s_mov_b32 s9, s8
	s_mov_b32 s10, s8
	;; [unrolled: 1-line block ×3, first 2 shown]
	s_nop 0
	global_store_dwordx4 v31, v[3:6], s[6:7]
	v_mov_b32_e32 v2, s8
	v_addc_co_u32_e32 v10, vcc, 0, v11, vcc
	v_mov_b32_e32 v3, s9
	v_mov_b32_e32 v4, s10
	;; [unrolled: 1-line block ×3, first 2 shown]
	global_store_dwordx4 v31, v[2:5], s[6:7] offset:16
	global_store_dwordx4 v31, v[2:5], s[6:7] offset:32
	;; [unrolled: 1-line block ×3, first 2 shown]
	s_and_saveexec_b64 s[6:7], s[0:1]
	s_cbranch_execz .LBB9_58
; %bb.51:
	v_mov_b32_e32 v6, 0
	global_load_dwordx2 v[13:14], v6, s[2:3] offset:32 glc
	global_load_dwordx2 v[2:3], v6, s[2:3] offset:40
	v_mov_b32_e32 v11, s4
	v_mov_b32_e32 v12, s5
	s_waitcnt vmcnt(0)
	v_and_b32_e32 v2, s4, v2
	v_and_b32_e32 v3, s5, v3
	v_mul_lo_u32 v3, v3, 24
	v_mul_hi_u32 v4, v2, 24
	v_mul_lo_u32 v2, v2, 24
	v_add_u32_e32 v3, v4, v3
	v_add_co_u32_e32 v4, vcc, v0, v2
	v_addc_co_u32_e32 v5, vcc, v1, v3, vcc
	global_store_dwordx2 v[4:5], v[13:14], off
	s_waitcnt vmcnt(0)
	global_atomic_cmpswap_x2 v[2:3], v6, v[11:14], s[2:3] offset:32 glc
	s_waitcnt vmcnt(0)
	v_cmp_ne_u64_e32 vcc, v[2:3], v[13:14]
	s_and_saveexec_b64 s[8:9], vcc
	s_cbranch_execz .LBB9_54
; %bb.52:
	s_mov_b64 s[10:11], 0
.LBB9_53:                               ; =>This Inner Loop Header: Depth=1
	s_sleep 1
	global_store_dwordx2 v[4:5], v[2:3], off
	v_mov_b32_e32 v0, s4
	v_mov_b32_e32 v1, s5
	s_waitcnt vmcnt(0)
	global_atomic_cmpswap_x2 v[0:1], v6, v[0:3], s[2:3] offset:32 glc
	s_waitcnt vmcnt(0)
	v_cmp_eq_u64_e32 vcc, v[0:1], v[2:3]
	v_mov_b32_e32 v3, v1
	s_or_b64 s[10:11], vcc, s[10:11]
	v_mov_b32_e32 v2, v0
	s_andn2_b64 exec, exec, s[10:11]
	s_cbranch_execnz .LBB9_53
.LBB9_54:
	s_or_b64 exec, exec, s[8:9]
	v_mov_b32_e32 v3, 0
	global_load_dwordx2 v[0:1], v3, s[2:3] offset:16
	s_mov_b64 s[8:9], exec
	v_mbcnt_lo_u32_b32 v2, s8, 0
	v_mbcnt_hi_u32_b32 v2, s9, v2
	v_cmp_eq_u32_e32 vcc, 0, v2
	s_and_saveexec_b64 s[10:11], vcc
	s_cbranch_execz .LBB9_56
; %bb.55:
	s_bcnt1_i32_b64 s8, s[8:9]
	v_mov_b32_e32 v2, s8
	s_waitcnt vmcnt(0)
	global_atomic_add_x2 v[0:1], v[2:3], off offset:8
.LBB9_56:
	s_or_b64 exec, exec, s[10:11]
	s_waitcnt vmcnt(0)
	global_load_dwordx2 v[2:3], v[0:1], off offset:16
	s_waitcnt vmcnt(0)
	v_cmp_eq_u64_e32 vcc, 0, v[2:3]
	s_cbranch_vccnz .LBB9_58
; %bb.57:
	global_load_dword v0, v[0:1], off offset:24
	v_mov_b32_e32 v1, 0
	s_waitcnt vmcnt(0)
	v_readfirstlane_b32 s8, v0
	s_and_b32 m0, s8, 0xffffff
	global_store_dwordx2 v[2:3], v[0:1], off
	s_sendmsg sendmsg(MSG_INTERRUPT)
.LBB9_58:
	s_or_b64 exec, exec, s[6:7]
	s_branch .LBB9_62
.LBB9_59:                               ;   in Loop: Header=BB9_62 Depth=1
	s_or_b64 exec, exec, s[6:7]
	v_readfirstlane_b32 s6, v0
	s_cmp_eq_u32 s6, 0
	s_cbranch_scc1 .LBB9_61
; %bb.60:                               ;   in Loop: Header=BB9_62 Depth=1
	s_sleep 1
	s_cbranch_execnz .LBB9_62
	s_branch .LBB9_64
.LBB9_61:
	s_branch .LBB9_64
.LBB9_62:                               ; =>This Inner Loop Header: Depth=1
	v_mov_b32_e32 v0, 1
	s_and_saveexec_b64 s[6:7], s[0:1]
	s_cbranch_execz .LBB9_59
; %bb.63:                               ;   in Loop: Header=BB9_62 Depth=1
	global_load_dword v0, v[7:8], off offset:20 glc
	s_waitcnt vmcnt(0)
	buffer_wbinvl1_vol
	v_and_b32_e32 v0, 1, v0
	s_branch .LBB9_59
.LBB9_64:
	global_load_dwordx2 v[0:1], v[9:10], off
	s_and_saveexec_b64 s[6:7], s[0:1]
	s_cbranch_execz .LBB9_67
; %bb.65:
	v_mov_b32_e32 v8, 0
	global_load_dwordx2 v[2:3], v8, s[2:3] offset:40
	global_load_dwordx2 v[11:12], v8, s[2:3] offset:24 glc
	global_load_dwordx2 v[4:5], v8, s[2:3]
	s_waitcnt vmcnt(2)
	v_readfirstlane_b32 s8, v2
	v_readfirstlane_b32 s9, v3
	s_add_u32 s10, s8, 1
	s_addc_u32 s11, s9, 0
	s_add_u32 s0, s10, s4
	s_addc_u32 s1, s11, s5
	s_cmp_eq_u64 s[0:1], 0
	s_cselect_b32 s1, s11, s1
	s_cselect_b32 s0, s10, s0
	s_and_b64 s[4:5], s[0:1], s[8:9]
	s_mul_i32 s5, s5, 24
	s_mul_hi_u32 s8, s4, 24
	s_mul_i32 s4, s4, 24
	s_add_i32 s5, s8, s5
	v_mov_b32_e32 v2, s5
	s_waitcnt vmcnt(0)
	v_add_co_u32_e32 v6, vcc, s4, v4
	v_addc_co_u32_e32 v7, vcc, v5, v2, vcc
	v_mov_b32_e32 v9, s0
	global_store_dwordx2 v[6:7], v[11:12], off
	v_mov_b32_e32 v10, s1
	s_waitcnt vmcnt(0)
	global_atomic_cmpswap_x2 v[4:5], v8, v[9:12], s[2:3] offset:24 glc
	s_mov_b64 s[4:5], 0
	s_waitcnt vmcnt(0)
	v_cmp_ne_u64_e32 vcc, v[4:5], v[11:12]
	s_and_b64 exec, exec, vcc
	s_cbranch_execz .LBB9_67
.LBB9_66:                               ; =>This Inner Loop Header: Depth=1
	s_sleep 1
	global_store_dwordx2 v[6:7], v[4:5], off
	v_mov_b32_e32 v2, s0
	v_mov_b32_e32 v3, s1
	s_waitcnt vmcnt(0)
	global_atomic_cmpswap_x2 v[2:3], v8, v[2:5], s[2:3] offset:24 glc
	s_waitcnt vmcnt(0)
	v_cmp_eq_u64_e32 vcc, v[2:3], v[4:5]
	v_mov_b32_e32 v5, v3
	s_or_b64 s[4:5], vcc, s[4:5]
	v_mov_b32_e32 v4, v2
	s_andn2_b64 exec, exec, s[4:5]
	s_cbranch_execnz .LBB9_66
.LBB9_67:
	s_or_b64 exec, exec, s[6:7]
	s_getpc_b64 s[4:5]
	s_add_u32 s4, s4, .str@rel32@lo+4
	s_addc_u32 s5, s5, .str@rel32@hi+12
	s_cmp_lg_u64 s[4:5], 0
	s_cselect_b64 s[0:1], -1, 0
	s_cmp_eq_u64 s[4:5], 0
	s_mov_b64 s[4:5], 0
	s_cbranch_scc1 .LBB9_71
; %bb.68:
	v_mov_b32_e32 v2, 0
	s_getpc_b64 s[4:5]
	s_add_u32 s4, s4, .str@rel32@lo+3
	s_addc_u32 s5, s5, .str@rel32@hi+11
.LBB9_69:                               ; =>This Inner Loop Header: Depth=1
	global_load_ubyte v3, v2, s[4:5] offset:1
	s_add_u32 s6, s4, 1
	s_addc_u32 s7, s5, 0
	s_mov_b64 s[4:5], s[6:7]
	s_waitcnt vmcnt(0)
	v_cmp_ne_u32_e32 vcc, 0, v3
	s_cbranch_vccnz .LBB9_69
; %bb.70:
	s_getpc_b64 s[4:5]
	s_add_u32 s4, s4, .str@rel32@lo+4
	s_addc_u32 s5, s5, .str@rel32@hi+12
	s_sub_u32 s4, s6, s4
	s_subb_u32 s5, s7, s5
	s_add_u32 s4, s4, 1
	s_addc_u32 s5, s5, 0
.LBB9_71:
	s_and_b64 vcc, exec, s[0:1]
	s_cbranch_vccz .LBB9_156
; %bb.72:
	s_waitcnt vmcnt(0)
	v_and_b32_e32 v33, 2, v0
	v_mov_b32_e32 v28, 0
	v_and_b32_e32 v4, -3, v0
	v_mov_b32_e32 v5, v1
	v_mov_b32_e32 v10, 2
	;; [unrolled: 1-line block ×3, first 2 shown]
	s_getpc_b64 s[6:7]
	s_add_u32 s6, s6, .str@rel32@lo+4
	s_addc_u32 s7, s7, .str@rel32@hi+12
	s_branch .LBB9_74
.LBB9_73:                               ;   in Loop: Header=BB9_74 Depth=1
	s_or_b64 exec, exec, s[12:13]
	s_sub_u32 s4, s4, s8
	s_subb_u32 s5, s5, s9
	s_add_u32 s6, s6, s8
	s_addc_u32 s7, s7, s9
	s_cmp_lg_u64 s[4:5], 0
	s_cbranch_scc0 .LBB9_157
.LBB9_74:                               ; =>This Loop Header: Depth=1
                                        ;     Child Loop BB9_77 Depth 2
                                        ;     Child Loop BB9_85 Depth 2
	;; [unrolled: 1-line block ×11, first 2 shown]
	v_cmp_lt_u64_e64 s[0:1], s[4:5], 56
	v_cmp_gt_u64_e64 s[10:11], s[4:5], 7
	s_and_b64 s[0:1], s[0:1], exec
	s_cselect_b32 s9, s5, 0
	s_cselect_b32 s8, s4, 56
	s_add_u32 s0, s6, 8
	s_addc_u32 s1, s7, 0
	s_and_b64 vcc, exec, s[10:11]
	s_cbranch_vccnz .LBB9_78
; %bb.75:                               ;   in Loop: Header=BB9_74 Depth=1
	s_cmp_eq_u64 s[4:5], 0
	s_cbranch_scc1 .LBB9_79
; %bb.76:                               ;   in Loop: Header=BB9_74 Depth=1
	v_mov_b32_e32 v6, 0
	s_lshl_b64 s[0:1], s[8:9], 3
	s_mov_b64 s[10:11], 0
	v_mov_b32_e32 v7, 0
	s_mov_b64 s[12:13], s[6:7]
.LBB9_77:                               ;   Parent Loop BB9_74 Depth=1
                                        ; =>  This Inner Loop Header: Depth=2
	global_load_ubyte v2, v28, s[12:13]
	s_waitcnt vmcnt(0)
	v_and_b32_e32 v27, 0xffff, v2
	v_lshlrev_b64 v[2:3], s10, v[27:28]
	s_add_u32 s10, s10, 8
	s_addc_u32 s11, s11, 0
	s_add_u32 s12, s12, 1
	s_addc_u32 s13, s13, 0
	v_or_b32_e32 v6, v2, v6
	s_cmp_lg_u32 s0, s10
	v_or_b32_e32 v7, v3, v7
	s_cbranch_scc1 .LBB9_77
	s_branch .LBB9_80
.LBB9_78:                               ;   in Loop: Header=BB9_74 Depth=1
	s_mov_b32 s14, 0
	s_branch .LBB9_81
.LBB9_79:                               ;   in Loop: Header=BB9_74 Depth=1
	v_mov_b32_e32 v6, 0
	v_mov_b32_e32 v7, 0
.LBB9_80:                               ;   in Loop: Header=BB9_74 Depth=1
	s_mov_b64 s[0:1], s[6:7]
	s_mov_b32 s14, 0
	s_cbranch_execnz .LBB9_82
.LBB9_81:                               ;   in Loop: Header=BB9_74 Depth=1
	global_load_dwordx2 v[6:7], v28, s[6:7]
	s_add_i32 s14, s8, -8
.LBB9_82:                               ;   in Loop: Header=BB9_74 Depth=1
	s_add_u32 s10, s0, 8
	s_addc_u32 s11, s1, 0
	s_cmp_gt_u32 s14, 7
	s_cbranch_scc1 .LBB9_86
; %bb.83:                               ;   in Loop: Header=BB9_74 Depth=1
	s_cmp_eq_u32 s14, 0
	s_cbranch_scc1 .LBB9_87
; %bb.84:                               ;   in Loop: Header=BB9_74 Depth=1
	v_mov_b32_e32 v12, 0
	s_mov_b64 s[10:11], 0
	v_mov_b32_e32 v13, 0
	s_mov_b64 s[12:13], 0
.LBB9_85:                               ;   Parent Loop BB9_74 Depth=1
                                        ; =>  This Inner Loop Header: Depth=2
	s_add_u32 s16, s0, s12
	s_addc_u32 s17, s1, s13
	global_load_ubyte v2, v28, s[16:17]
	s_add_u32 s12, s12, 1
	s_addc_u32 s13, s13, 0
	s_waitcnt vmcnt(0)
	v_and_b32_e32 v27, 0xffff, v2
	v_lshlrev_b64 v[2:3], s10, v[27:28]
	s_add_u32 s10, s10, 8
	s_addc_u32 s11, s11, 0
	v_or_b32_e32 v12, v2, v12
	s_cmp_lg_u32 s14, s12
	v_or_b32_e32 v13, v3, v13
	s_cbranch_scc1 .LBB9_85
	s_branch .LBB9_88
.LBB9_86:                               ;   in Loop: Header=BB9_74 Depth=1
                                        ; implicit-def: $vgpr12_vgpr13
	s_mov_b32 s15, 0
	s_branch .LBB9_89
.LBB9_87:                               ;   in Loop: Header=BB9_74 Depth=1
	v_mov_b32_e32 v12, 0
	v_mov_b32_e32 v13, 0
.LBB9_88:                               ;   in Loop: Header=BB9_74 Depth=1
	s_mov_b64 s[10:11], s[0:1]
	s_mov_b32 s15, 0
	s_cbranch_execnz .LBB9_90
.LBB9_89:                               ;   in Loop: Header=BB9_74 Depth=1
	global_load_dwordx2 v[12:13], v28, s[0:1]
	s_add_i32 s15, s14, -8
.LBB9_90:                               ;   in Loop: Header=BB9_74 Depth=1
	s_add_u32 s0, s10, 8
	s_addc_u32 s1, s11, 0
	s_cmp_gt_u32 s15, 7
	s_cbranch_scc1 .LBB9_94
; %bb.91:                               ;   in Loop: Header=BB9_74 Depth=1
	s_cmp_eq_u32 s15, 0
	s_cbranch_scc1 .LBB9_95
; %bb.92:                               ;   in Loop: Header=BB9_74 Depth=1
	v_mov_b32_e32 v14, 0
	s_mov_b64 s[0:1], 0
	v_mov_b32_e32 v15, 0
	s_mov_b64 s[12:13], 0
.LBB9_93:                               ;   Parent Loop BB9_74 Depth=1
                                        ; =>  This Inner Loop Header: Depth=2
	s_add_u32 s16, s10, s12
	s_addc_u32 s17, s11, s13
	global_load_ubyte v2, v28, s[16:17]
	s_add_u32 s12, s12, 1
	s_addc_u32 s13, s13, 0
	s_waitcnt vmcnt(0)
	v_and_b32_e32 v27, 0xffff, v2
	v_lshlrev_b64 v[2:3], s0, v[27:28]
	s_add_u32 s0, s0, 8
	s_addc_u32 s1, s1, 0
	v_or_b32_e32 v14, v2, v14
	s_cmp_lg_u32 s15, s12
	v_or_b32_e32 v15, v3, v15
	s_cbranch_scc1 .LBB9_93
	s_branch .LBB9_96
.LBB9_94:                               ;   in Loop: Header=BB9_74 Depth=1
	s_mov_b32 s14, 0
	s_branch .LBB9_97
.LBB9_95:                               ;   in Loop: Header=BB9_74 Depth=1
	v_mov_b32_e32 v14, 0
	v_mov_b32_e32 v15, 0
.LBB9_96:                               ;   in Loop: Header=BB9_74 Depth=1
	s_mov_b64 s[0:1], s[10:11]
	s_mov_b32 s14, 0
	s_cbranch_execnz .LBB9_98
.LBB9_97:                               ;   in Loop: Header=BB9_74 Depth=1
	global_load_dwordx2 v[14:15], v28, s[10:11]
	s_add_i32 s14, s15, -8
.LBB9_98:                               ;   in Loop: Header=BB9_74 Depth=1
	s_add_u32 s10, s0, 8
	s_addc_u32 s11, s1, 0
	s_cmp_gt_u32 s14, 7
	s_cbranch_scc1 .LBB9_102
; %bb.99:                               ;   in Loop: Header=BB9_74 Depth=1
	s_cmp_eq_u32 s14, 0
	s_cbranch_scc1 .LBB9_103
; %bb.100:                              ;   in Loop: Header=BB9_74 Depth=1
	v_mov_b32_e32 v16, 0
	s_mov_b64 s[10:11], 0
	v_mov_b32_e32 v17, 0
	s_mov_b64 s[12:13], 0
.LBB9_101:                              ;   Parent Loop BB9_74 Depth=1
                                        ; =>  This Inner Loop Header: Depth=2
	s_add_u32 s16, s0, s12
	s_addc_u32 s17, s1, s13
	global_load_ubyte v2, v28, s[16:17]
	s_add_u32 s12, s12, 1
	s_addc_u32 s13, s13, 0
	s_waitcnt vmcnt(0)
	v_and_b32_e32 v27, 0xffff, v2
	v_lshlrev_b64 v[2:3], s10, v[27:28]
	s_add_u32 s10, s10, 8
	s_addc_u32 s11, s11, 0
	v_or_b32_e32 v16, v2, v16
	s_cmp_lg_u32 s14, s12
	v_or_b32_e32 v17, v3, v17
	s_cbranch_scc1 .LBB9_101
	s_branch .LBB9_104
.LBB9_102:                              ;   in Loop: Header=BB9_74 Depth=1
                                        ; implicit-def: $vgpr16_vgpr17
	s_mov_b32 s15, 0
	s_branch .LBB9_105
.LBB9_103:                              ;   in Loop: Header=BB9_74 Depth=1
	v_mov_b32_e32 v16, 0
	v_mov_b32_e32 v17, 0
.LBB9_104:                              ;   in Loop: Header=BB9_74 Depth=1
	s_mov_b64 s[10:11], s[0:1]
	s_mov_b32 s15, 0
	s_cbranch_execnz .LBB9_106
.LBB9_105:                              ;   in Loop: Header=BB9_74 Depth=1
	global_load_dwordx2 v[16:17], v28, s[0:1]
	s_add_i32 s15, s14, -8
.LBB9_106:                              ;   in Loop: Header=BB9_74 Depth=1
	s_add_u32 s0, s10, 8
	s_addc_u32 s1, s11, 0
	s_cmp_gt_u32 s15, 7
	s_cbranch_scc1 .LBB9_110
; %bb.107:                              ;   in Loop: Header=BB9_74 Depth=1
	s_cmp_eq_u32 s15, 0
	s_cbranch_scc1 .LBB9_111
; %bb.108:                              ;   in Loop: Header=BB9_74 Depth=1
	v_mov_b32_e32 v18, 0
	s_mov_b64 s[0:1], 0
	v_mov_b32_e32 v19, 0
	s_mov_b64 s[12:13], 0
.LBB9_109:                              ;   Parent Loop BB9_74 Depth=1
                                        ; =>  This Inner Loop Header: Depth=2
	s_add_u32 s16, s10, s12
	s_addc_u32 s17, s11, s13
	global_load_ubyte v2, v28, s[16:17]
	s_add_u32 s12, s12, 1
	s_addc_u32 s13, s13, 0
	s_waitcnt vmcnt(0)
	v_and_b32_e32 v27, 0xffff, v2
	v_lshlrev_b64 v[2:3], s0, v[27:28]
	s_add_u32 s0, s0, 8
	s_addc_u32 s1, s1, 0
	v_or_b32_e32 v18, v2, v18
	s_cmp_lg_u32 s15, s12
	v_or_b32_e32 v19, v3, v19
	s_cbranch_scc1 .LBB9_109
	s_branch .LBB9_112
.LBB9_110:                              ;   in Loop: Header=BB9_74 Depth=1
	s_mov_b32 s14, 0
	s_branch .LBB9_113
.LBB9_111:                              ;   in Loop: Header=BB9_74 Depth=1
	v_mov_b32_e32 v18, 0
	v_mov_b32_e32 v19, 0
.LBB9_112:                              ;   in Loop: Header=BB9_74 Depth=1
	s_mov_b64 s[0:1], s[10:11]
	s_mov_b32 s14, 0
	s_cbranch_execnz .LBB9_114
.LBB9_113:                              ;   in Loop: Header=BB9_74 Depth=1
	global_load_dwordx2 v[18:19], v28, s[10:11]
	s_add_i32 s14, s15, -8
.LBB9_114:                              ;   in Loop: Header=BB9_74 Depth=1
	s_add_u32 s10, s0, 8
	s_addc_u32 s11, s1, 0
	s_cmp_gt_u32 s14, 7
	s_cbranch_scc1 .LBB9_118
; %bb.115:                              ;   in Loop: Header=BB9_74 Depth=1
	s_cmp_eq_u32 s14, 0
	s_cbranch_scc1 .LBB9_119
; %bb.116:                              ;   in Loop: Header=BB9_74 Depth=1
	v_mov_b32_e32 v20, 0
	s_mov_b64 s[10:11], 0
	v_mov_b32_e32 v21, 0
	s_mov_b64 s[12:13], 0
.LBB9_117:                              ;   Parent Loop BB9_74 Depth=1
                                        ; =>  This Inner Loop Header: Depth=2
	s_add_u32 s16, s0, s12
	s_addc_u32 s17, s1, s13
	global_load_ubyte v2, v28, s[16:17]
	s_add_u32 s12, s12, 1
	s_addc_u32 s13, s13, 0
	s_waitcnt vmcnt(0)
	v_and_b32_e32 v27, 0xffff, v2
	v_lshlrev_b64 v[2:3], s10, v[27:28]
	s_add_u32 s10, s10, 8
	s_addc_u32 s11, s11, 0
	v_or_b32_e32 v20, v2, v20
	s_cmp_lg_u32 s14, s12
	v_or_b32_e32 v21, v3, v21
	s_cbranch_scc1 .LBB9_117
	s_branch .LBB9_120
.LBB9_118:                              ;   in Loop: Header=BB9_74 Depth=1
                                        ; implicit-def: $vgpr20_vgpr21
	s_mov_b32 s15, 0
	s_branch .LBB9_121
.LBB9_119:                              ;   in Loop: Header=BB9_74 Depth=1
	v_mov_b32_e32 v20, 0
	v_mov_b32_e32 v21, 0
.LBB9_120:                              ;   in Loop: Header=BB9_74 Depth=1
	s_mov_b64 s[10:11], s[0:1]
	s_mov_b32 s15, 0
	s_cbranch_execnz .LBB9_122
.LBB9_121:                              ;   in Loop: Header=BB9_74 Depth=1
	global_load_dwordx2 v[20:21], v28, s[0:1]
	s_add_i32 s15, s14, -8
.LBB9_122:                              ;   in Loop: Header=BB9_74 Depth=1
	s_cmp_gt_u32 s15, 7
	s_cbranch_scc1 .LBB9_126
; %bb.123:                              ;   in Loop: Header=BB9_74 Depth=1
	s_cmp_eq_u32 s15, 0
	s_cbranch_scc1 .LBB9_127
; %bb.124:                              ;   in Loop: Header=BB9_74 Depth=1
	v_mov_b32_e32 v22, 0
	s_mov_b64 s[0:1], 0
	v_mov_b32_e32 v23, 0
	s_mov_b64 s[12:13], s[10:11]
.LBB9_125:                              ;   Parent Loop BB9_74 Depth=1
                                        ; =>  This Inner Loop Header: Depth=2
	global_load_ubyte v2, v28, s[12:13]
	s_add_i32 s15, s15, -1
	s_waitcnt vmcnt(0)
	v_and_b32_e32 v27, 0xffff, v2
	v_lshlrev_b64 v[2:3], s0, v[27:28]
	s_add_u32 s0, s0, 8
	s_addc_u32 s1, s1, 0
	s_add_u32 s12, s12, 1
	s_addc_u32 s13, s13, 0
	v_or_b32_e32 v22, v2, v22
	s_cmp_lg_u32 s15, 0
	v_or_b32_e32 v23, v3, v23
	s_cbranch_scc1 .LBB9_125
	s_branch .LBB9_128
.LBB9_126:                              ;   in Loop: Header=BB9_74 Depth=1
	s_branch .LBB9_129
.LBB9_127:                              ;   in Loop: Header=BB9_74 Depth=1
	v_mov_b32_e32 v22, 0
	v_mov_b32_e32 v23, 0
.LBB9_128:                              ;   in Loop: Header=BB9_74 Depth=1
	s_cbranch_execnz .LBB9_130
.LBB9_129:                              ;   in Loop: Header=BB9_74 Depth=1
	global_load_dwordx2 v[22:23], v28, s[10:11]
.LBB9_130:                              ;   in Loop: Header=BB9_74 Depth=1
	v_readfirstlane_b32 s0, v32
	v_mov_b32_e32 v2, 0
	v_mov_b32_e32 v3, 0
	v_cmp_eq_u32_e64 s[0:1], s0, v32
	s_and_saveexec_b64 s[10:11], s[0:1]
	s_cbranch_execz .LBB9_136
; %bb.131:                              ;   in Loop: Header=BB9_74 Depth=1
	global_load_dwordx2 v[26:27], v28, s[2:3] offset:24 glc
	s_waitcnt vmcnt(0)
	buffer_wbinvl1_vol
	global_load_dwordx2 v[2:3], v28, s[2:3] offset:40
	global_load_dwordx2 v[8:9], v28, s[2:3]
	s_waitcnt vmcnt(1)
	v_and_b32_e32 v2, v2, v26
	v_and_b32_e32 v3, v3, v27
	v_mul_lo_u32 v3, v3, 24
	v_mul_hi_u32 v24, v2, 24
	v_mul_lo_u32 v2, v2, 24
	v_add_u32_e32 v3, v24, v3
	s_waitcnt vmcnt(0)
	v_add_co_u32_e32 v2, vcc, v8, v2
	v_addc_co_u32_e32 v3, vcc, v9, v3, vcc
	global_load_dwordx2 v[24:25], v[2:3], off glc
	s_waitcnt vmcnt(0)
	global_atomic_cmpswap_x2 v[2:3], v28, v[24:27], s[2:3] offset:24 glc
	s_waitcnt vmcnt(0)
	buffer_wbinvl1_vol
	v_cmp_ne_u64_e32 vcc, v[2:3], v[26:27]
	s_and_saveexec_b64 s[12:13], vcc
	s_cbranch_execz .LBB9_135
; %bb.132:                              ;   in Loop: Header=BB9_74 Depth=1
	s_mov_b64 s[14:15], 0
.LBB9_133:                              ;   Parent Loop BB9_74 Depth=1
                                        ; =>  This Inner Loop Header: Depth=2
	s_sleep 1
	global_load_dwordx2 v[8:9], v28, s[2:3] offset:40
	global_load_dwordx2 v[24:25], v28, s[2:3]
	v_mov_b32_e32 v27, v3
	v_mov_b32_e32 v26, v2
	s_waitcnt vmcnt(1)
	v_and_b32_e32 v2, v8, v26
	s_waitcnt vmcnt(0)
	v_mad_u64_u32 v[2:3], s[16:17], v2, 24, v[24:25]
	v_and_b32_e32 v8, v9, v27
	v_mad_u64_u32 v[8:9], s[16:17], v8, 24, v[3:4]
	v_mov_b32_e32 v3, v8
	global_load_dwordx2 v[24:25], v[2:3], off glc
	s_waitcnt vmcnt(0)
	global_atomic_cmpswap_x2 v[2:3], v28, v[24:27], s[2:3] offset:24 glc
	s_waitcnt vmcnt(0)
	buffer_wbinvl1_vol
	v_cmp_eq_u64_e32 vcc, v[2:3], v[26:27]
	s_or_b64 s[14:15], vcc, s[14:15]
	s_andn2_b64 exec, exec, s[14:15]
	s_cbranch_execnz .LBB9_133
; %bb.134:                              ;   in Loop: Header=BB9_74 Depth=1
	s_or_b64 exec, exec, s[14:15]
.LBB9_135:                              ;   in Loop: Header=BB9_74 Depth=1
	s_or_b64 exec, exec, s[12:13]
.LBB9_136:                              ;   in Loop: Header=BB9_74 Depth=1
	s_or_b64 exec, exec, s[10:11]
	global_load_dwordx2 v[8:9], v28, s[2:3] offset:40
	global_load_dwordx4 v[24:27], v28, s[2:3]
	v_readfirstlane_b32 s11, v3
	v_readfirstlane_b32 s10, v2
	s_mov_b64 s[12:13], exec
	s_waitcnt vmcnt(1)
	v_readfirstlane_b32 s14, v8
	v_readfirstlane_b32 s15, v9
	s_and_b64 s[14:15], s[14:15], s[10:11]
	s_mul_i32 s16, s15, 24
	s_mul_hi_u32 s17, s14, 24
	s_mul_i32 s18, s14, 24
	s_add_i32 s16, s17, s16
	v_mov_b32_e32 v2, s16
	s_waitcnt vmcnt(0)
	v_add_co_u32_e32 v29, vcc, s18, v24
	v_addc_co_u32_e32 v30, vcc, v25, v2, vcc
	s_and_saveexec_b64 s[16:17], s[0:1]
	s_cbranch_execz .LBB9_138
; %bb.137:                              ;   in Loop: Header=BB9_74 Depth=1
	v_mov_b32_e32 v8, s12
	v_mov_b32_e32 v9, s13
	global_store_dwordx4 v[29:30], v[8:11], off offset:8
.LBB9_138:                              ;   in Loop: Header=BB9_74 Depth=1
	s_or_b64 exec, exec, s[16:17]
	s_lshl_b64 s[12:13], s[14:15], 12
	v_mov_b32_e32 v2, s13
	v_add_co_u32_e32 v8, vcc, s12, v26
	v_addc_co_u32_e32 v9, vcc, v27, v2, vcc
	v_cmp_lt_u64_e64 vcc, s[4:5], 57
	s_lshl_b32 s12, s8, 2
	v_cndmask_b32_e32 v2, 0, v33, vcc
	s_add_i32 s12, s12, 28
	v_and_b32_e32 v3, 0xffffff1f, v4
	s_and_b32 s12, s12, 0x1e0
	v_or_b32_e32 v2, v3, v2
	v_or_b32_e32 v4, s12, v2
	v_readfirstlane_b32 s12, v8
	v_readfirstlane_b32 s13, v9
	s_nop 4
	global_store_dwordx4 v31, v[4:7], s[12:13]
	global_store_dwordx4 v31, v[12:15], s[12:13] offset:16
	global_store_dwordx4 v31, v[16:19], s[12:13] offset:32
	;; [unrolled: 1-line block ×3, first 2 shown]
	s_and_saveexec_b64 s[12:13], s[0:1]
	s_cbranch_execz .LBB9_146
; %bb.139:                              ;   in Loop: Header=BB9_74 Depth=1
	global_load_dwordx2 v[14:15], v28, s[2:3] offset:32 glc
	global_load_dwordx2 v[2:3], v28, s[2:3] offset:40
	v_mov_b32_e32 v12, s10
	v_mov_b32_e32 v13, s11
	s_waitcnt vmcnt(0)
	v_readfirstlane_b32 s14, v2
	v_readfirstlane_b32 s15, v3
	s_and_b64 s[14:15], s[14:15], s[10:11]
	s_mul_i32 s15, s15, 24
	s_mul_hi_u32 s16, s14, 24
	s_mul_i32 s14, s14, 24
	s_add_i32 s15, s16, s15
	v_mov_b32_e32 v2, s15
	v_add_co_u32_e32 v6, vcc, s14, v24
	v_addc_co_u32_e32 v7, vcc, v25, v2, vcc
	global_store_dwordx2 v[6:7], v[14:15], off
	s_waitcnt vmcnt(0)
	global_atomic_cmpswap_x2 v[4:5], v28, v[12:15], s[2:3] offset:32 glc
	s_waitcnt vmcnt(0)
	v_cmp_ne_u64_e32 vcc, v[4:5], v[14:15]
	s_and_saveexec_b64 s[14:15], vcc
	s_cbranch_execz .LBB9_142
; %bb.140:                              ;   in Loop: Header=BB9_74 Depth=1
	s_mov_b64 s[16:17], 0
.LBB9_141:                              ;   Parent Loop BB9_74 Depth=1
                                        ; =>  This Inner Loop Header: Depth=2
	s_sleep 1
	global_store_dwordx2 v[6:7], v[4:5], off
	v_mov_b32_e32 v2, s10
	v_mov_b32_e32 v3, s11
	s_waitcnt vmcnt(0)
	global_atomic_cmpswap_x2 v[2:3], v28, v[2:5], s[2:3] offset:32 glc
	s_waitcnt vmcnt(0)
	v_cmp_eq_u64_e32 vcc, v[2:3], v[4:5]
	v_mov_b32_e32 v5, v3
	s_or_b64 s[16:17], vcc, s[16:17]
	v_mov_b32_e32 v4, v2
	s_andn2_b64 exec, exec, s[16:17]
	s_cbranch_execnz .LBB9_141
.LBB9_142:                              ;   in Loop: Header=BB9_74 Depth=1
	s_or_b64 exec, exec, s[14:15]
	global_load_dwordx2 v[2:3], v28, s[2:3] offset:16
	s_mov_b64 s[16:17], exec
	v_mbcnt_lo_u32_b32 v4, s16, 0
	v_mbcnt_hi_u32_b32 v4, s17, v4
	v_cmp_eq_u32_e32 vcc, 0, v4
	s_and_saveexec_b64 s[14:15], vcc
	s_cbranch_execz .LBB9_144
; %bb.143:                              ;   in Loop: Header=BB9_74 Depth=1
	s_bcnt1_i32_b64 s16, s[16:17]
	v_mov_b32_e32 v27, s16
	s_waitcnt vmcnt(0)
	global_atomic_add_x2 v[2:3], v[27:28], off offset:8
.LBB9_144:                              ;   in Loop: Header=BB9_74 Depth=1
	s_or_b64 exec, exec, s[14:15]
	s_waitcnt vmcnt(0)
	global_load_dwordx2 v[4:5], v[2:3], off offset:16
	s_waitcnt vmcnt(0)
	v_cmp_eq_u64_e32 vcc, 0, v[4:5]
	s_cbranch_vccnz .LBB9_146
; %bb.145:                              ;   in Loop: Header=BB9_74 Depth=1
	global_load_dword v27, v[2:3], off offset:24
	s_waitcnt vmcnt(0)
	v_readfirstlane_b32 s14, v27
	s_and_b32 m0, s14, 0xffffff
	global_store_dwordx2 v[4:5], v[27:28], off
	s_sendmsg sendmsg(MSG_INTERRUPT)
.LBB9_146:                              ;   in Loop: Header=BB9_74 Depth=1
	s_or_b64 exec, exec, s[12:13]
	v_add_co_u32_e32 v2, vcc, v8, v31
	v_addc_co_u32_e32 v3, vcc, 0, v9, vcc
	s_branch .LBB9_150
.LBB9_147:                              ;   in Loop: Header=BB9_150 Depth=2
	s_or_b64 exec, exec, s[12:13]
	v_readfirstlane_b32 s12, v4
	s_cmp_eq_u32 s12, 0
	s_cbranch_scc1 .LBB9_149
; %bb.148:                              ;   in Loop: Header=BB9_150 Depth=2
	s_sleep 1
	s_cbranch_execnz .LBB9_150
	s_branch .LBB9_152
.LBB9_149:                              ;   in Loop: Header=BB9_74 Depth=1
	s_branch .LBB9_152
.LBB9_150:                              ;   Parent Loop BB9_74 Depth=1
                                        ; =>  This Inner Loop Header: Depth=2
	v_mov_b32_e32 v4, 1
	s_and_saveexec_b64 s[12:13], s[0:1]
	s_cbranch_execz .LBB9_147
; %bb.151:                              ;   in Loop: Header=BB9_150 Depth=2
	global_load_dword v4, v[29:30], off offset:20 glc
	s_waitcnt vmcnt(0)
	buffer_wbinvl1_vol
	v_and_b32_e32 v4, 1, v4
	s_branch .LBB9_147
.LBB9_152:                              ;   in Loop: Header=BB9_74 Depth=1
	global_load_dwordx2 v[4:5], v[2:3], off
	s_and_saveexec_b64 s[12:13], s[0:1]
	s_cbranch_execz .LBB9_73
; %bb.153:                              ;   in Loop: Header=BB9_74 Depth=1
	global_load_dwordx2 v[2:3], v28, s[2:3] offset:40
	global_load_dwordx2 v[14:15], v28, s[2:3] offset:24 glc
	global_load_dwordx2 v[6:7], v28, s[2:3]
	s_waitcnt vmcnt(2)
	v_readfirstlane_b32 s14, v2
	v_readfirstlane_b32 s15, v3
	s_add_u32 s16, s14, 1
	s_addc_u32 s17, s15, 0
	s_add_u32 s0, s16, s10
	s_addc_u32 s1, s17, s11
	s_cmp_eq_u64 s[0:1], 0
	s_cselect_b32 s1, s17, s1
	s_cselect_b32 s0, s16, s0
	s_and_b64 s[10:11], s[0:1], s[14:15]
	s_mul_i32 s11, s11, 24
	s_mul_hi_u32 s14, s10, 24
	s_mul_i32 s10, s10, 24
	s_add_i32 s11, s14, s11
	v_mov_b32_e32 v3, s11
	s_waitcnt vmcnt(0)
	v_add_co_u32_e32 v2, vcc, s10, v6
	v_addc_co_u32_e32 v3, vcc, v7, v3, vcc
	v_mov_b32_e32 v12, s0
	global_store_dwordx2 v[2:3], v[14:15], off
	v_mov_b32_e32 v13, s1
	s_waitcnt vmcnt(0)
	global_atomic_cmpswap_x2 v[8:9], v28, v[12:15], s[2:3] offset:24 glc
	s_waitcnt vmcnt(0)
	v_cmp_ne_u64_e32 vcc, v[8:9], v[14:15]
	s_and_b64 exec, exec, vcc
	s_cbranch_execz .LBB9_73
; %bb.154:                              ;   in Loop: Header=BB9_74 Depth=1
	s_mov_b64 s[10:11], 0
.LBB9_155:                              ;   Parent Loop BB9_74 Depth=1
                                        ; =>  This Inner Loop Header: Depth=2
	s_sleep 1
	global_store_dwordx2 v[2:3], v[8:9], off
	v_mov_b32_e32 v6, s0
	v_mov_b32_e32 v7, s1
	s_waitcnt vmcnt(0)
	global_atomic_cmpswap_x2 v[6:7], v28, v[6:9], s[2:3] offset:24 glc
	s_waitcnt vmcnt(0)
	v_cmp_eq_u64_e32 vcc, v[6:7], v[8:9]
	v_mov_b32_e32 v9, v7
	s_or_b64 s[10:11], vcc, s[10:11]
	v_mov_b32_e32 v8, v6
	s_andn2_b64 exec, exec, s[10:11]
	s_cbranch_execnz .LBB9_155
	s_branch .LBB9_73
.LBB9_156:
	s_mov_b64 s[0:1], -1
                                        ; implicit-def: $vgpr4_vgpr5
	s_branch .LBB9_158
.LBB9_157:
	s_mov_b64 s[0:1], 0
.LBB9_158:
	s_and_b64 vcc, exec, s[0:1]
	s_cbranch_vccz .LBB9_185
; %bb.159:
	v_readfirstlane_b32 s0, v32
	v_mov_b32_e32 v8, 0
	v_mov_b32_e32 v9, 0
	v_cmp_eq_u32_e64 s[0:1], s0, v32
	s_and_saveexec_b64 s[4:5], s[0:1]
	s_cbranch_execz .LBB9_165
; %bb.160:
	v_mov_b32_e32 v2, 0
	global_load_dwordx2 v[5:6], v2, s[2:3] offset:24 glc
	s_waitcnt vmcnt(0)
	buffer_wbinvl1_vol
	global_load_dwordx2 v[3:4], v2, s[2:3] offset:40
	global_load_dwordx2 v[7:8], v2, s[2:3]
	s_waitcnt vmcnt(1)
	v_and_b32_e32 v3, v3, v5
	v_and_b32_e32 v4, v4, v6
	v_mul_lo_u32 v4, v4, 24
	v_mul_hi_u32 v9, v3, 24
	v_mul_lo_u32 v3, v3, 24
	v_add_u32_e32 v4, v9, v4
	s_waitcnt vmcnt(0)
	v_add_co_u32_e32 v3, vcc, v7, v3
	v_addc_co_u32_e32 v4, vcc, v8, v4, vcc
	global_load_dwordx2 v[3:4], v[3:4], off glc
	s_waitcnt vmcnt(0)
	global_atomic_cmpswap_x2 v[8:9], v2, v[3:6], s[2:3] offset:24 glc
	s_waitcnt vmcnt(0)
	buffer_wbinvl1_vol
	v_cmp_ne_u64_e32 vcc, v[8:9], v[5:6]
	s_and_saveexec_b64 s[6:7], vcc
	s_cbranch_execz .LBB9_164
; %bb.161:
	s_mov_b64 s[8:9], 0
.LBB9_162:                              ; =>This Inner Loop Header: Depth=1
	s_sleep 1
	global_load_dwordx2 v[3:4], v2, s[2:3] offset:40
	global_load_dwordx2 v[10:11], v2, s[2:3]
	v_mov_b32_e32 v5, v8
	v_mov_b32_e32 v6, v9
	s_waitcnt vmcnt(1)
	v_and_b32_e32 v3, v3, v5
	s_waitcnt vmcnt(0)
	v_mad_u64_u32 v[7:8], s[10:11], v3, 24, v[10:11]
	v_and_b32_e32 v4, v4, v6
	v_mov_b32_e32 v3, v8
	v_mad_u64_u32 v[3:4], s[10:11], v4, 24, v[3:4]
	v_mov_b32_e32 v8, v3
	global_load_dwordx2 v[3:4], v[7:8], off glc
	s_waitcnt vmcnt(0)
	global_atomic_cmpswap_x2 v[8:9], v2, v[3:6], s[2:3] offset:24 glc
	s_waitcnt vmcnt(0)
	buffer_wbinvl1_vol
	v_cmp_eq_u64_e32 vcc, v[8:9], v[5:6]
	s_or_b64 s[8:9], vcc, s[8:9]
	s_andn2_b64 exec, exec, s[8:9]
	s_cbranch_execnz .LBB9_162
; %bb.163:
	s_or_b64 exec, exec, s[8:9]
.LBB9_164:
	s_or_b64 exec, exec, s[6:7]
.LBB9_165:
	s_or_b64 exec, exec, s[4:5]
	v_mov_b32_e32 v2, 0
	global_load_dwordx2 v[10:11], v2, s[2:3] offset:40
	global_load_dwordx4 v[4:7], v2, s[2:3]
	v_readfirstlane_b32 s5, v9
	v_readfirstlane_b32 s4, v8
	s_mov_b64 s[6:7], exec
	s_waitcnt vmcnt(1)
	v_readfirstlane_b32 s8, v10
	v_readfirstlane_b32 s9, v11
	s_and_b64 s[8:9], s[8:9], s[4:5]
	s_mul_i32 s10, s9, 24
	s_mul_hi_u32 s11, s8, 24
	s_mul_i32 s12, s8, 24
	s_add_i32 s10, s11, s10
	v_mov_b32_e32 v3, s10
	s_waitcnt vmcnt(0)
	v_add_co_u32_e32 v8, vcc, s12, v4
	v_addc_co_u32_e32 v9, vcc, v5, v3, vcc
	s_and_saveexec_b64 s[10:11], s[0:1]
	s_cbranch_execz .LBB9_167
; %bb.166:
	v_mov_b32_e32 v11, s7
	v_mov_b32_e32 v10, s6
	;; [unrolled: 1-line block ×4, first 2 shown]
	global_store_dwordx4 v[8:9], v[10:13], off offset:8
.LBB9_167:
	s_or_b64 exec, exec, s[10:11]
	s_lshl_b64 s[6:7], s[8:9], 12
	v_mov_b32_e32 v3, s7
	v_add_co_u32_e32 v10, vcc, s6, v6
	v_addc_co_u32_e32 v11, vcc, v7, v3, vcc
	s_movk_i32 s6, 0xff1f
	v_and_or_b32 v0, v0, s6, 32
	s_mov_b32 s8, 0
	v_mov_b32_e32 v3, v2
	v_readfirstlane_b32 s6, v10
	v_readfirstlane_b32 s7, v11
	v_add_co_u32_e32 v6, vcc, v10, v31
	s_mov_b32 s9, s8
	s_mov_b32 s10, s8
	;; [unrolled: 1-line block ×3, first 2 shown]
	s_nop 0
	global_store_dwordx4 v31, v[0:3], s[6:7]
	v_addc_co_u32_e32 v7, vcc, 0, v11, vcc
	v_mov_b32_e32 v0, s8
	v_mov_b32_e32 v1, s9
	;; [unrolled: 1-line block ×4, first 2 shown]
	global_store_dwordx4 v31, v[0:3], s[6:7] offset:16
	global_store_dwordx4 v31, v[0:3], s[6:7] offset:32
	;; [unrolled: 1-line block ×3, first 2 shown]
	s_and_saveexec_b64 s[6:7], s[0:1]
	s_cbranch_execz .LBB9_175
; %bb.168:
	v_mov_b32_e32 v10, 0
	global_load_dwordx2 v[13:14], v10, s[2:3] offset:32 glc
	global_load_dwordx2 v[0:1], v10, s[2:3] offset:40
	v_mov_b32_e32 v11, s4
	v_mov_b32_e32 v12, s5
	s_waitcnt vmcnt(0)
	v_readfirstlane_b32 s8, v0
	v_readfirstlane_b32 s9, v1
	s_and_b64 s[8:9], s[8:9], s[4:5]
	s_mul_i32 s9, s9, 24
	s_mul_hi_u32 s10, s8, 24
	s_mul_i32 s8, s8, 24
	s_add_i32 s9, s10, s9
	v_mov_b32_e32 v0, s9
	v_add_co_u32_e32 v4, vcc, s8, v4
	v_addc_co_u32_e32 v5, vcc, v5, v0, vcc
	global_store_dwordx2 v[4:5], v[13:14], off
	s_waitcnt vmcnt(0)
	global_atomic_cmpswap_x2 v[2:3], v10, v[11:14], s[2:3] offset:32 glc
	s_waitcnt vmcnt(0)
	v_cmp_ne_u64_e32 vcc, v[2:3], v[13:14]
	s_and_saveexec_b64 s[8:9], vcc
	s_cbranch_execz .LBB9_171
; %bb.169:
	s_mov_b64 s[10:11], 0
.LBB9_170:                              ; =>This Inner Loop Header: Depth=1
	s_sleep 1
	global_store_dwordx2 v[4:5], v[2:3], off
	v_mov_b32_e32 v0, s4
	v_mov_b32_e32 v1, s5
	s_waitcnt vmcnt(0)
	global_atomic_cmpswap_x2 v[0:1], v10, v[0:3], s[2:3] offset:32 glc
	s_waitcnt vmcnt(0)
	v_cmp_eq_u64_e32 vcc, v[0:1], v[2:3]
	v_mov_b32_e32 v3, v1
	s_or_b64 s[10:11], vcc, s[10:11]
	v_mov_b32_e32 v2, v0
	s_andn2_b64 exec, exec, s[10:11]
	s_cbranch_execnz .LBB9_170
.LBB9_171:
	s_or_b64 exec, exec, s[8:9]
	v_mov_b32_e32 v3, 0
	global_load_dwordx2 v[0:1], v3, s[2:3] offset:16
	s_mov_b64 s[8:9], exec
	v_mbcnt_lo_u32_b32 v2, s8, 0
	v_mbcnt_hi_u32_b32 v2, s9, v2
	v_cmp_eq_u32_e32 vcc, 0, v2
	s_and_saveexec_b64 s[10:11], vcc
	s_cbranch_execz .LBB9_173
; %bb.172:
	s_bcnt1_i32_b64 s8, s[8:9]
	v_mov_b32_e32 v2, s8
	s_waitcnt vmcnt(0)
	global_atomic_add_x2 v[0:1], v[2:3], off offset:8
.LBB9_173:
	s_or_b64 exec, exec, s[10:11]
	s_waitcnt vmcnt(0)
	global_load_dwordx2 v[2:3], v[0:1], off offset:16
	s_waitcnt vmcnt(0)
	v_cmp_eq_u64_e32 vcc, 0, v[2:3]
	s_cbranch_vccnz .LBB9_175
; %bb.174:
	global_load_dword v0, v[0:1], off offset:24
	v_mov_b32_e32 v1, 0
	s_waitcnt vmcnt(0)
	v_readfirstlane_b32 s8, v0
	s_and_b32 m0, s8, 0xffffff
	global_store_dwordx2 v[2:3], v[0:1], off
	s_sendmsg sendmsg(MSG_INTERRUPT)
.LBB9_175:
	s_or_b64 exec, exec, s[6:7]
	s_branch .LBB9_179
.LBB9_176:                              ;   in Loop: Header=BB9_179 Depth=1
	s_or_b64 exec, exec, s[6:7]
	v_readfirstlane_b32 s6, v0
	s_cmp_eq_u32 s6, 0
	s_cbranch_scc1 .LBB9_178
; %bb.177:                              ;   in Loop: Header=BB9_179 Depth=1
	s_sleep 1
	s_cbranch_execnz .LBB9_179
	s_branch .LBB9_181
.LBB9_178:
	s_branch .LBB9_181
.LBB9_179:                              ; =>This Inner Loop Header: Depth=1
	v_mov_b32_e32 v0, 1
	s_and_saveexec_b64 s[6:7], s[0:1]
	s_cbranch_execz .LBB9_176
; %bb.180:                              ;   in Loop: Header=BB9_179 Depth=1
	global_load_dword v0, v[8:9], off offset:20 glc
	s_waitcnt vmcnt(0)
	buffer_wbinvl1_vol
	v_and_b32_e32 v0, 1, v0
	s_branch .LBB9_176
.LBB9_181:
	global_load_dwordx2 v[4:5], v[6:7], off
	s_and_saveexec_b64 s[6:7], s[0:1]
	s_cbranch_execz .LBB9_184
; %bb.182:
	v_mov_b32_e32 v8, 0
	global_load_dwordx2 v[0:1], v8, s[2:3] offset:40
	global_load_dwordx2 v[11:12], v8, s[2:3] offset:24 glc
	global_load_dwordx2 v[2:3], v8, s[2:3]
	s_waitcnt vmcnt(2)
	v_readfirstlane_b32 s8, v0
	v_readfirstlane_b32 s9, v1
	s_add_u32 s10, s8, 1
	s_addc_u32 s11, s9, 0
	s_add_u32 s0, s10, s4
	s_addc_u32 s1, s11, s5
	s_cmp_eq_u64 s[0:1], 0
	s_cselect_b32 s1, s11, s1
	s_cselect_b32 s0, s10, s0
	s_and_b64 s[4:5], s[0:1], s[8:9]
	s_mul_i32 s5, s5, 24
	s_mul_hi_u32 s8, s4, 24
	s_mul_i32 s4, s4, 24
	s_add_i32 s5, s8, s5
	v_mov_b32_e32 v0, s5
	s_waitcnt vmcnt(0)
	v_add_co_u32_e32 v6, vcc, s4, v2
	v_addc_co_u32_e32 v7, vcc, v3, v0, vcc
	v_mov_b32_e32 v9, s0
	global_store_dwordx2 v[6:7], v[11:12], off
	v_mov_b32_e32 v10, s1
	s_waitcnt vmcnt(0)
	global_atomic_cmpswap_x2 v[2:3], v8, v[9:12], s[2:3] offset:24 glc
	s_mov_b64 s[4:5], 0
	s_waitcnt vmcnt(0)
	v_cmp_ne_u64_e32 vcc, v[2:3], v[11:12]
	s_and_b64 exec, exec, vcc
	s_cbranch_execz .LBB9_184
.LBB9_183:                              ; =>This Inner Loop Header: Depth=1
	s_sleep 1
	global_store_dwordx2 v[6:7], v[2:3], off
	v_mov_b32_e32 v0, s0
	v_mov_b32_e32 v1, s1
	s_waitcnt vmcnt(0)
	global_atomic_cmpswap_x2 v[0:1], v8, v[0:3], s[2:3] offset:24 glc
	s_waitcnt vmcnt(0)
	v_cmp_eq_u64_e32 vcc, v[0:1], v[2:3]
	v_mov_b32_e32 v3, v1
	s_or_b64 s[4:5], vcc, s[4:5]
	v_mov_b32_e32 v2, v0
	s_andn2_b64 exec, exec, s[4:5]
	s_cbranch_execnz .LBB9_183
.LBB9_184:
	s_or_b64 exec, exec, s[6:7]
.LBB9_185:
	s_getpc_b64 s[4:5]
	s_add_u32 s4, s4, .str.1@rel32@lo+4
	s_addc_u32 s5, s5, .str.1@rel32@hi+12
	s_cmp_lg_u64 s[4:5], 0
	s_cbranch_scc0 .LBB9_270
; %bb.186:
	s_waitcnt vmcnt(0)
	v_and_b32_e32 v29, 2, v4
	v_mov_b32_e32 v26, 0
	v_and_b32_e32 v0, -3, v4
	v_mov_b32_e32 v1, v5
	s_mov_b64 s[6:7], 0x61
	v_mov_b32_e32 v8, 2
	v_mov_b32_e32 v9, 1
	s_branch .LBB9_188
.LBB9_187:                              ;   in Loop: Header=BB9_188 Depth=1
	s_or_b64 exec, exec, s[12:13]
	s_sub_u32 s6, s6, s8
	s_subb_u32 s7, s7, s9
	s_add_u32 s4, s4, s8
	s_addc_u32 s5, s5, s9
	s_cmp_lg_u64 s[6:7], 0
	s_cbranch_scc0 .LBB9_271
.LBB9_188:                              ; =>This Loop Header: Depth=1
                                        ;     Child Loop BB9_191 Depth 2
                                        ;     Child Loop BB9_199 Depth 2
	;; [unrolled: 1-line block ×11, first 2 shown]
	v_cmp_lt_u64_e64 s[0:1], s[6:7], 56
	v_cmp_gt_u64_e64 s[10:11], s[6:7], 7
	s_and_b64 s[0:1], s[0:1], exec
	s_cselect_b32 s9, s7, 0
	s_cselect_b32 s8, s6, 56
	s_add_u32 s0, s4, 8
	s_addc_u32 s1, s5, 0
	s_and_b64 vcc, exec, s[10:11]
	s_cbranch_vccnz .LBB9_192
; %bb.189:                              ;   in Loop: Header=BB9_188 Depth=1
	s_cmp_eq_u64 s[6:7], 0
	s_cbranch_scc1 .LBB9_193
; %bb.190:                              ;   in Loop: Header=BB9_188 Depth=1
	v_mov_b32_e32 v2, 0
	s_lshl_b64 s[0:1], s[8:9], 3
	s_mov_b64 s[10:11], 0
	v_mov_b32_e32 v3, 0
	s_mov_b64 s[12:13], s[4:5]
.LBB9_191:                              ;   Parent Loop BB9_188 Depth=1
                                        ; =>  This Inner Loop Header: Depth=2
	global_load_ubyte v6, v26, s[12:13]
	s_waitcnt vmcnt(0)
	v_and_b32_e32 v25, 0xffff, v6
	v_lshlrev_b64 v[6:7], s10, v[25:26]
	s_add_u32 s10, s10, 8
	s_addc_u32 s11, s11, 0
	s_add_u32 s12, s12, 1
	s_addc_u32 s13, s13, 0
	v_or_b32_e32 v2, v6, v2
	s_cmp_lg_u32 s0, s10
	v_or_b32_e32 v3, v7, v3
	s_cbranch_scc1 .LBB9_191
	s_branch .LBB9_194
.LBB9_192:                              ;   in Loop: Header=BB9_188 Depth=1
	s_mov_b32 s14, 0
	s_branch .LBB9_195
.LBB9_193:                              ;   in Loop: Header=BB9_188 Depth=1
	v_mov_b32_e32 v2, 0
	v_mov_b32_e32 v3, 0
.LBB9_194:                              ;   in Loop: Header=BB9_188 Depth=1
	s_mov_b64 s[0:1], s[4:5]
	s_mov_b32 s14, 0
	s_cbranch_execnz .LBB9_196
.LBB9_195:                              ;   in Loop: Header=BB9_188 Depth=1
	global_load_dwordx2 v[2:3], v26, s[4:5]
	s_add_i32 s14, s8, -8
.LBB9_196:                              ;   in Loop: Header=BB9_188 Depth=1
	s_add_u32 s10, s0, 8
	s_addc_u32 s11, s1, 0
	s_cmp_gt_u32 s14, 7
	s_cbranch_scc1 .LBB9_200
; %bb.197:                              ;   in Loop: Header=BB9_188 Depth=1
	s_cmp_eq_u32 s14, 0
	s_cbranch_scc1 .LBB9_201
; %bb.198:                              ;   in Loop: Header=BB9_188 Depth=1
	v_mov_b32_e32 v10, 0
	s_mov_b64 s[10:11], 0
	v_mov_b32_e32 v11, 0
	s_mov_b64 s[12:13], 0
.LBB9_199:                              ;   Parent Loop BB9_188 Depth=1
                                        ; =>  This Inner Loop Header: Depth=2
	s_add_u32 s16, s0, s12
	s_addc_u32 s17, s1, s13
	global_load_ubyte v6, v26, s[16:17]
	s_add_u32 s12, s12, 1
	s_addc_u32 s13, s13, 0
	s_waitcnt vmcnt(0)
	v_and_b32_e32 v25, 0xffff, v6
	v_lshlrev_b64 v[6:7], s10, v[25:26]
	s_add_u32 s10, s10, 8
	s_addc_u32 s11, s11, 0
	v_or_b32_e32 v10, v6, v10
	s_cmp_lg_u32 s14, s12
	v_or_b32_e32 v11, v7, v11
	s_cbranch_scc1 .LBB9_199
	s_branch .LBB9_202
.LBB9_200:                              ;   in Loop: Header=BB9_188 Depth=1
                                        ; implicit-def: $vgpr10_vgpr11
	s_mov_b32 s15, 0
	s_branch .LBB9_203
.LBB9_201:                              ;   in Loop: Header=BB9_188 Depth=1
	v_mov_b32_e32 v10, 0
	v_mov_b32_e32 v11, 0
.LBB9_202:                              ;   in Loop: Header=BB9_188 Depth=1
	s_mov_b64 s[10:11], s[0:1]
	s_mov_b32 s15, 0
	s_cbranch_execnz .LBB9_204
.LBB9_203:                              ;   in Loop: Header=BB9_188 Depth=1
	global_load_dwordx2 v[10:11], v26, s[0:1]
	s_add_i32 s15, s14, -8
.LBB9_204:                              ;   in Loop: Header=BB9_188 Depth=1
	s_add_u32 s0, s10, 8
	s_addc_u32 s1, s11, 0
	s_cmp_gt_u32 s15, 7
	s_cbranch_scc1 .LBB9_208
; %bb.205:                              ;   in Loop: Header=BB9_188 Depth=1
	s_cmp_eq_u32 s15, 0
	s_cbranch_scc1 .LBB9_209
; %bb.206:                              ;   in Loop: Header=BB9_188 Depth=1
	v_mov_b32_e32 v12, 0
	s_mov_b64 s[0:1], 0
	v_mov_b32_e32 v13, 0
	s_mov_b64 s[12:13], 0
.LBB9_207:                              ;   Parent Loop BB9_188 Depth=1
                                        ; =>  This Inner Loop Header: Depth=2
	s_add_u32 s16, s10, s12
	s_addc_u32 s17, s11, s13
	global_load_ubyte v6, v26, s[16:17]
	s_add_u32 s12, s12, 1
	s_addc_u32 s13, s13, 0
	s_waitcnt vmcnt(0)
	v_and_b32_e32 v25, 0xffff, v6
	v_lshlrev_b64 v[6:7], s0, v[25:26]
	s_add_u32 s0, s0, 8
	s_addc_u32 s1, s1, 0
	v_or_b32_e32 v12, v6, v12
	s_cmp_lg_u32 s15, s12
	v_or_b32_e32 v13, v7, v13
	s_cbranch_scc1 .LBB9_207
	s_branch .LBB9_210
.LBB9_208:                              ;   in Loop: Header=BB9_188 Depth=1
	s_mov_b32 s14, 0
	s_branch .LBB9_211
.LBB9_209:                              ;   in Loop: Header=BB9_188 Depth=1
	v_mov_b32_e32 v12, 0
	v_mov_b32_e32 v13, 0
.LBB9_210:                              ;   in Loop: Header=BB9_188 Depth=1
	s_mov_b64 s[0:1], s[10:11]
	s_mov_b32 s14, 0
	s_cbranch_execnz .LBB9_212
.LBB9_211:                              ;   in Loop: Header=BB9_188 Depth=1
	global_load_dwordx2 v[12:13], v26, s[10:11]
	s_add_i32 s14, s15, -8
.LBB9_212:                              ;   in Loop: Header=BB9_188 Depth=1
	s_add_u32 s10, s0, 8
	s_addc_u32 s11, s1, 0
	s_cmp_gt_u32 s14, 7
	s_cbranch_scc1 .LBB9_216
; %bb.213:                              ;   in Loop: Header=BB9_188 Depth=1
	s_cmp_eq_u32 s14, 0
	s_cbranch_scc1 .LBB9_217
; %bb.214:                              ;   in Loop: Header=BB9_188 Depth=1
	v_mov_b32_e32 v14, 0
	s_mov_b64 s[10:11], 0
	v_mov_b32_e32 v15, 0
	s_mov_b64 s[12:13], 0
.LBB9_215:                              ;   Parent Loop BB9_188 Depth=1
                                        ; =>  This Inner Loop Header: Depth=2
	s_add_u32 s16, s0, s12
	s_addc_u32 s17, s1, s13
	global_load_ubyte v6, v26, s[16:17]
	s_add_u32 s12, s12, 1
	s_addc_u32 s13, s13, 0
	s_waitcnt vmcnt(0)
	v_and_b32_e32 v25, 0xffff, v6
	v_lshlrev_b64 v[6:7], s10, v[25:26]
	s_add_u32 s10, s10, 8
	s_addc_u32 s11, s11, 0
	v_or_b32_e32 v14, v6, v14
	s_cmp_lg_u32 s14, s12
	v_or_b32_e32 v15, v7, v15
	s_cbranch_scc1 .LBB9_215
	s_branch .LBB9_218
.LBB9_216:                              ;   in Loop: Header=BB9_188 Depth=1
                                        ; implicit-def: $vgpr14_vgpr15
	s_mov_b32 s15, 0
	s_branch .LBB9_219
.LBB9_217:                              ;   in Loop: Header=BB9_188 Depth=1
	v_mov_b32_e32 v14, 0
	v_mov_b32_e32 v15, 0
.LBB9_218:                              ;   in Loop: Header=BB9_188 Depth=1
	s_mov_b64 s[10:11], s[0:1]
	s_mov_b32 s15, 0
	s_cbranch_execnz .LBB9_220
.LBB9_219:                              ;   in Loop: Header=BB9_188 Depth=1
	global_load_dwordx2 v[14:15], v26, s[0:1]
	s_add_i32 s15, s14, -8
.LBB9_220:                              ;   in Loop: Header=BB9_188 Depth=1
	s_add_u32 s0, s10, 8
	s_addc_u32 s1, s11, 0
	s_cmp_gt_u32 s15, 7
	s_cbranch_scc1 .LBB9_224
; %bb.221:                              ;   in Loop: Header=BB9_188 Depth=1
	s_cmp_eq_u32 s15, 0
	s_cbranch_scc1 .LBB9_225
; %bb.222:                              ;   in Loop: Header=BB9_188 Depth=1
	v_mov_b32_e32 v16, 0
	s_mov_b64 s[0:1], 0
	v_mov_b32_e32 v17, 0
	s_mov_b64 s[12:13], 0
.LBB9_223:                              ;   Parent Loop BB9_188 Depth=1
                                        ; =>  This Inner Loop Header: Depth=2
	s_add_u32 s16, s10, s12
	s_addc_u32 s17, s11, s13
	global_load_ubyte v6, v26, s[16:17]
	s_add_u32 s12, s12, 1
	s_addc_u32 s13, s13, 0
	s_waitcnt vmcnt(0)
	v_and_b32_e32 v25, 0xffff, v6
	v_lshlrev_b64 v[6:7], s0, v[25:26]
	s_add_u32 s0, s0, 8
	s_addc_u32 s1, s1, 0
	v_or_b32_e32 v16, v6, v16
	s_cmp_lg_u32 s15, s12
	v_or_b32_e32 v17, v7, v17
	s_cbranch_scc1 .LBB9_223
	s_branch .LBB9_226
.LBB9_224:                              ;   in Loop: Header=BB9_188 Depth=1
	s_mov_b32 s14, 0
	s_branch .LBB9_227
.LBB9_225:                              ;   in Loop: Header=BB9_188 Depth=1
	v_mov_b32_e32 v16, 0
	v_mov_b32_e32 v17, 0
.LBB9_226:                              ;   in Loop: Header=BB9_188 Depth=1
	s_mov_b64 s[0:1], s[10:11]
	s_mov_b32 s14, 0
	s_cbranch_execnz .LBB9_228
.LBB9_227:                              ;   in Loop: Header=BB9_188 Depth=1
	global_load_dwordx2 v[16:17], v26, s[10:11]
	s_add_i32 s14, s15, -8
.LBB9_228:                              ;   in Loop: Header=BB9_188 Depth=1
	s_add_u32 s10, s0, 8
	s_addc_u32 s11, s1, 0
	s_cmp_gt_u32 s14, 7
	s_cbranch_scc1 .LBB9_232
; %bb.229:                              ;   in Loop: Header=BB9_188 Depth=1
	s_cmp_eq_u32 s14, 0
	s_cbranch_scc1 .LBB9_233
; %bb.230:                              ;   in Loop: Header=BB9_188 Depth=1
	v_mov_b32_e32 v18, 0
	s_mov_b64 s[10:11], 0
	v_mov_b32_e32 v19, 0
	s_mov_b64 s[12:13], 0
.LBB9_231:                              ;   Parent Loop BB9_188 Depth=1
                                        ; =>  This Inner Loop Header: Depth=2
	s_add_u32 s16, s0, s12
	s_addc_u32 s17, s1, s13
	global_load_ubyte v6, v26, s[16:17]
	s_add_u32 s12, s12, 1
	s_addc_u32 s13, s13, 0
	s_waitcnt vmcnt(0)
	v_and_b32_e32 v25, 0xffff, v6
	v_lshlrev_b64 v[6:7], s10, v[25:26]
	s_add_u32 s10, s10, 8
	s_addc_u32 s11, s11, 0
	v_or_b32_e32 v18, v6, v18
	s_cmp_lg_u32 s14, s12
	v_or_b32_e32 v19, v7, v19
	s_cbranch_scc1 .LBB9_231
	s_branch .LBB9_234
.LBB9_232:                              ;   in Loop: Header=BB9_188 Depth=1
                                        ; implicit-def: $vgpr18_vgpr19
	s_mov_b32 s15, 0
	s_branch .LBB9_235
.LBB9_233:                              ;   in Loop: Header=BB9_188 Depth=1
	v_mov_b32_e32 v18, 0
	v_mov_b32_e32 v19, 0
.LBB9_234:                              ;   in Loop: Header=BB9_188 Depth=1
	s_mov_b64 s[10:11], s[0:1]
	s_mov_b32 s15, 0
	s_cbranch_execnz .LBB9_236
.LBB9_235:                              ;   in Loop: Header=BB9_188 Depth=1
	global_load_dwordx2 v[18:19], v26, s[0:1]
	s_add_i32 s15, s14, -8
.LBB9_236:                              ;   in Loop: Header=BB9_188 Depth=1
	s_cmp_gt_u32 s15, 7
	s_cbranch_scc1 .LBB9_240
; %bb.237:                              ;   in Loop: Header=BB9_188 Depth=1
	s_cmp_eq_u32 s15, 0
	s_cbranch_scc1 .LBB9_241
; %bb.238:                              ;   in Loop: Header=BB9_188 Depth=1
	v_mov_b32_e32 v20, 0
	s_mov_b64 s[0:1], 0
	v_mov_b32_e32 v21, 0
	s_mov_b64 s[12:13], s[10:11]
.LBB9_239:                              ;   Parent Loop BB9_188 Depth=1
                                        ; =>  This Inner Loop Header: Depth=2
	global_load_ubyte v6, v26, s[12:13]
	s_add_i32 s15, s15, -1
	s_waitcnt vmcnt(0)
	v_and_b32_e32 v25, 0xffff, v6
	v_lshlrev_b64 v[6:7], s0, v[25:26]
	s_add_u32 s0, s0, 8
	s_addc_u32 s1, s1, 0
	s_add_u32 s12, s12, 1
	s_addc_u32 s13, s13, 0
	v_or_b32_e32 v20, v6, v20
	s_cmp_lg_u32 s15, 0
	v_or_b32_e32 v21, v7, v21
	s_cbranch_scc1 .LBB9_239
	s_branch .LBB9_242
.LBB9_240:                              ;   in Loop: Header=BB9_188 Depth=1
	s_branch .LBB9_243
.LBB9_241:                              ;   in Loop: Header=BB9_188 Depth=1
	v_mov_b32_e32 v20, 0
	v_mov_b32_e32 v21, 0
.LBB9_242:                              ;   in Loop: Header=BB9_188 Depth=1
	s_cbranch_execnz .LBB9_244
.LBB9_243:                              ;   in Loop: Header=BB9_188 Depth=1
	global_load_dwordx2 v[20:21], v26, s[10:11]
.LBB9_244:                              ;   in Loop: Header=BB9_188 Depth=1
	v_readfirstlane_b32 s0, v32
	v_mov_b32_e32 v6, 0
	v_mov_b32_e32 v7, 0
	v_cmp_eq_u32_e64 s[0:1], s0, v32
	s_and_saveexec_b64 s[10:11], s[0:1]
	s_cbranch_execz .LBB9_250
; %bb.245:                              ;   in Loop: Header=BB9_188 Depth=1
	global_load_dwordx2 v[24:25], v26, s[2:3] offset:24 glc
	s_waitcnt vmcnt(0)
	buffer_wbinvl1_vol
	global_load_dwordx2 v[6:7], v26, s[2:3] offset:40
	global_load_dwordx2 v[22:23], v26, s[2:3]
	s_waitcnt vmcnt(1)
	v_and_b32_e32 v6, v6, v24
	v_and_b32_e32 v7, v7, v25
	v_mul_lo_u32 v7, v7, 24
	v_mul_hi_u32 v27, v6, 24
	v_mul_lo_u32 v6, v6, 24
	v_add_u32_e32 v7, v27, v7
	s_waitcnt vmcnt(0)
	v_add_co_u32_e32 v6, vcc, v22, v6
	v_addc_co_u32_e32 v7, vcc, v23, v7, vcc
	global_load_dwordx2 v[22:23], v[6:7], off glc
	s_waitcnt vmcnt(0)
	global_atomic_cmpswap_x2 v[6:7], v26, v[22:25], s[2:3] offset:24 glc
	s_waitcnt vmcnt(0)
	buffer_wbinvl1_vol
	v_cmp_ne_u64_e32 vcc, v[6:7], v[24:25]
	s_and_saveexec_b64 s[12:13], vcc
	s_cbranch_execz .LBB9_249
; %bb.246:                              ;   in Loop: Header=BB9_188 Depth=1
	s_mov_b64 s[14:15], 0
.LBB9_247:                              ;   Parent Loop BB9_188 Depth=1
                                        ; =>  This Inner Loop Header: Depth=2
	s_sleep 1
	global_load_dwordx2 v[22:23], v26, s[2:3] offset:40
	global_load_dwordx2 v[27:28], v26, s[2:3]
	v_mov_b32_e32 v25, v7
	v_mov_b32_e32 v24, v6
	s_waitcnt vmcnt(1)
	v_and_b32_e32 v6, v22, v24
	s_waitcnt vmcnt(0)
	v_mad_u64_u32 v[6:7], s[16:17], v6, 24, v[27:28]
	v_and_b32_e32 v22, v23, v25
	v_mad_u64_u32 v[22:23], s[16:17], v22, 24, v[7:8]
	v_mov_b32_e32 v7, v22
	global_load_dwordx2 v[22:23], v[6:7], off glc
	s_waitcnt vmcnt(0)
	global_atomic_cmpswap_x2 v[6:7], v26, v[22:25], s[2:3] offset:24 glc
	s_waitcnt vmcnt(0)
	buffer_wbinvl1_vol
	v_cmp_eq_u64_e32 vcc, v[6:7], v[24:25]
	s_or_b64 s[14:15], vcc, s[14:15]
	s_andn2_b64 exec, exec, s[14:15]
	s_cbranch_execnz .LBB9_247
; %bb.248:                              ;   in Loop: Header=BB9_188 Depth=1
	s_or_b64 exec, exec, s[14:15]
.LBB9_249:                              ;   in Loop: Header=BB9_188 Depth=1
	s_or_b64 exec, exec, s[12:13]
.LBB9_250:                              ;   in Loop: Header=BB9_188 Depth=1
	s_or_b64 exec, exec, s[10:11]
	global_load_dwordx2 v[27:28], v26, s[2:3] offset:40
	global_load_dwordx4 v[22:25], v26, s[2:3]
	v_readfirstlane_b32 s11, v7
	v_readfirstlane_b32 s10, v6
	s_mov_b64 s[12:13], exec
	s_waitcnt vmcnt(1)
	v_readfirstlane_b32 s14, v27
	v_readfirstlane_b32 s15, v28
	s_and_b64 s[14:15], s[14:15], s[10:11]
	s_mul_i32 s16, s15, 24
	s_mul_hi_u32 s17, s14, 24
	s_mul_i32 s18, s14, 24
	s_add_i32 s16, s17, s16
	v_mov_b32_e32 v6, s16
	s_waitcnt vmcnt(0)
	v_add_co_u32_e32 v27, vcc, s18, v22
	v_addc_co_u32_e32 v28, vcc, v23, v6, vcc
	s_and_saveexec_b64 s[16:17], s[0:1]
	s_cbranch_execz .LBB9_252
; %bb.251:                              ;   in Loop: Header=BB9_188 Depth=1
	v_mov_b32_e32 v6, s12
	v_mov_b32_e32 v7, s13
	global_store_dwordx4 v[27:28], v[6:9], off offset:8
.LBB9_252:                              ;   in Loop: Header=BB9_188 Depth=1
	s_or_b64 exec, exec, s[16:17]
	s_lshl_b64 s[12:13], s[14:15], 12
	v_mov_b32_e32 v6, s13
	v_add_co_u32_e32 v24, vcc, s12, v24
	v_addc_co_u32_e32 v30, vcc, v25, v6, vcc
	v_cmp_lt_u64_e64 vcc, s[6:7], 57
	s_lshl_b32 s12, s8, 2
	v_cndmask_b32_e32 v6, 0, v29, vcc
	s_add_i32 s12, s12, 28
	v_and_b32_e32 v0, 0xffffff1f, v0
	s_and_b32 s12, s12, 0x1e0
	v_or_b32_e32 v0, v0, v6
	v_or_b32_e32 v0, s12, v0
	v_readfirstlane_b32 s12, v24
	v_readfirstlane_b32 s13, v30
	s_nop 4
	global_store_dwordx4 v31, v[0:3], s[12:13]
	global_store_dwordx4 v31, v[10:13], s[12:13] offset:16
	global_store_dwordx4 v31, v[14:17], s[12:13] offset:32
	;; [unrolled: 1-line block ×3, first 2 shown]
	s_and_saveexec_b64 s[12:13], s[0:1]
	s_cbranch_execz .LBB9_260
; %bb.253:                              ;   in Loop: Header=BB9_188 Depth=1
	global_load_dwordx2 v[12:13], v26, s[2:3] offset:32 glc
	global_load_dwordx2 v[0:1], v26, s[2:3] offset:40
	v_mov_b32_e32 v10, s10
	v_mov_b32_e32 v11, s11
	s_waitcnt vmcnt(0)
	v_readfirstlane_b32 s14, v0
	v_readfirstlane_b32 s15, v1
	s_and_b64 s[14:15], s[14:15], s[10:11]
	s_mul_i32 s15, s15, 24
	s_mul_hi_u32 s16, s14, 24
	s_mul_i32 s14, s14, 24
	s_add_i32 s15, s16, s15
	v_mov_b32_e32 v0, s15
	v_add_co_u32_e32 v6, vcc, s14, v22
	v_addc_co_u32_e32 v7, vcc, v23, v0, vcc
	global_store_dwordx2 v[6:7], v[12:13], off
	s_waitcnt vmcnt(0)
	global_atomic_cmpswap_x2 v[2:3], v26, v[10:13], s[2:3] offset:32 glc
	s_waitcnt vmcnt(0)
	v_cmp_ne_u64_e32 vcc, v[2:3], v[12:13]
	s_and_saveexec_b64 s[14:15], vcc
	s_cbranch_execz .LBB9_256
; %bb.254:                              ;   in Loop: Header=BB9_188 Depth=1
	s_mov_b64 s[16:17], 0
.LBB9_255:                              ;   Parent Loop BB9_188 Depth=1
                                        ; =>  This Inner Loop Header: Depth=2
	s_sleep 1
	global_store_dwordx2 v[6:7], v[2:3], off
	v_mov_b32_e32 v0, s10
	v_mov_b32_e32 v1, s11
	s_waitcnt vmcnt(0)
	global_atomic_cmpswap_x2 v[0:1], v26, v[0:3], s[2:3] offset:32 glc
	s_waitcnt vmcnt(0)
	v_cmp_eq_u64_e32 vcc, v[0:1], v[2:3]
	v_mov_b32_e32 v3, v1
	s_or_b64 s[16:17], vcc, s[16:17]
	v_mov_b32_e32 v2, v0
	s_andn2_b64 exec, exec, s[16:17]
	s_cbranch_execnz .LBB9_255
.LBB9_256:                              ;   in Loop: Header=BB9_188 Depth=1
	s_or_b64 exec, exec, s[14:15]
	global_load_dwordx2 v[0:1], v26, s[2:3] offset:16
	s_mov_b64 s[16:17], exec
	v_mbcnt_lo_u32_b32 v2, s16, 0
	v_mbcnt_hi_u32_b32 v2, s17, v2
	v_cmp_eq_u32_e32 vcc, 0, v2
	s_and_saveexec_b64 s[14:15], vcc
	s_cbranch_execz .LBB9_258
; %bb.257:                              ;   in Loop: Header=BB9_188 Depth=1
	s_bcnt1_i32_b64 s16, s[16:17]
	v_mov_b32_e32 v25, s16
	s_waitcnt vmcnt(0)
	global_atomic_add_x2 v[0:1], v[25:26], off offset:8
.LBB9_258:                              ;   in Loop: Header=BB9_188 Depth=1
	s_or_b64 exec, exec, s[14:15]
	s_waitcnt vmcnt(0)
	global_load_dwordx2 v[2:3], v[0:1], off offset:16
	s_waitcnt vmcnt(0)
	v_cmp_eq_u64_e32 vcc, 0, v[2:3]
	s_cbranch_vccnz .LBB9_260
; %bb.259:                              ;   in Loop: Header=BB9_188 Depth=1
	global_load_dword v25, v[0:1], off offset:24
	s_waitcnt vmcnt(0)
	v_readfirstlane_b32 s14, v25
	s_and_b32 m0, s14, 0xffffff
	global_store_dwordx2 v[2:3], v[25:26], off
	s_sendmsg sendmsg(MSG_INTERRUPT)
.LBB9_260:                              ;   in Loop: Header=BB9_188 Depth=1
	s_or_b64 exec, exec, s[12:13]
	v_add_co_u32_e32 v0, vcc, v24, v31
	v_addc_co_u32_e32 v1, vcc, 0, v30, vcc
	s_branch .LBB9_264
.LBB9_261:                              ;   in Loop: Header=BB9_264 Depth=2
	s_or_b64 exec, exec, s[12:13]
	v_readfirstlane_b32 s12, v2
	s_cmp_eq_u32 s12, 0
	s_cbranch_scc1 .LBB9_263
; %bb.262:                              ;   in Loop: Header=BB9_264 Depth=2
	s_sleep 1
	s_cbranch_execnz .LBB9_264
	s_branch .LBB9_266
.LBB9_263:                              ;   in Loop: Header=BB9_188 Depth=1
	s_branch .LBB9_266
.LBB9_264:                              ;   Parent Loop BB9_188 Depth=1
                                        ; =>  This Inner Loop Header: Depth=2
	v_mov_b32_e32 v2, 1
	s_and_saveexec_b64 s[12:13], s[0:1]
	s_cbranch_execz .LBB9_261
; %bb.265:                              ;   in Loop: Header=BB9_264 Depth=2
	global_load_dword v2, v[27:28], off offset:20 glc
	s_waitcnt vmcnt(0)
	buffer_wbinvl1_vol
	v_and_b32_e32 v2, 1, v2
	s_branch .LBB9_261
.LBB9_266:                              ;   in Loop: Header=BB9_188 Depth=1
	global_load_dwordx2 v[0:1], v[0:1], off
	s_and_saveexec_b64 s[12:13], s[0:1]
	s_cbranch_execz .LBB9_187
; %bb.267:                              ;   in Loop: Header=BB9_188 Depth=1
	global_load_dwordx2 v[2:3], v26, s[2:3] offset:40
	global_load_dwordx2 v[14:15], v26, s[2:3] offset:24 glc
	global_load_dwordx2 v[6:7], v26, s[2:3]
	s_waitcnt vmcnt(2)
	v_readfirstlane_b32 s14, v2
	v_readfirstlane_b32 s15, v3
	s_add_u32 s16, s14, 1
	s_addc_u32 s17, s15, 0
	s_add_u32 s0, s16, s10
	s_addc_u32 s1, s17, s11
	s_cmp_eq_u64 s[0:1], 0
	s_cselect_b32 s1, s17, s1
	s_cselect_b32 s0, s16, s0
	s_and_b64 s[10:11], s[0:1], s[14:15]
	s_mul_i32 s11, s11, 24
	s_mul_hi_u32 s14, s10, 24
	s_mul_i32 s10, s10, 24
	s_add_i32 s11, s14, s11
	v_mov_b32_e32 v3, s11
	s_waitcnt vmcnt(0)
	v_add_co_u32_e32 v2, vcc, s10, v6
	v_addc_co_u32_e32 v3, vcc, v7, v3, vcc
	v_mov_b32_e32 v12, s0
	global_store_dwordx2 v[2:3], v[14:15], off
	v_mov_b32_e32 v13, s1
	s_waitcnt vmcnt(0)
	global_atomic_cmpswap_x2 v[12:13], v26, v[12:15], s[2:3] offset:24 glc
	s_waitcnt vmcnt(0)
	v_cmp_ne_u64_e32 vcc, v[12:13], v[14:15]
	s_and_b64 exec, exec, vcc
	s_cbranch_execz .LBB9_187
; %bb.268:                              ;   in Loop: Header=BB9_188 Depth=1
	s_mov_b64 s[10:11], 0
.LBB9_269:                              ;   Parent Loop BB9_188 Depth=1
                                        ; =>  This Inner Loop Header: Depth=2
	s_sleep 1
	global_store_dwordx2 v[2:3], v[12:13], off
	v_mov_b32_e32 v10, s0
	v_mov_b32_e32 v11, s1
	s_waitcnt vmcnt(0)
	global_atomic_cmpswap_x2 v[6:7], v26, v[10:13], s[2:3] offset:24 glc
	s_waitcnt vmcnt(0)
	v_cmp_eq_u64_e32 vcc, v[6:7], v[12:13]
	v_mov_b32_e32 v13, v7
	s_or_b64 s[10:11], vcc, s[10:11]
	v_mov_b32_e32 v12, v6
	s_andn2_b64 exec, exec, s[10:11]
	s_cbranch_execnz .LBB9_269
	s_branch .LBB9_187
.LBB9_270:
	s_mov_b64 s[0:1], -1
                                        ; implicit-def: $vgpr0_vgpr1
	s_branch .LBB9_272
.LBB9_271:
	s_mov_b64 s[0:1], 0
.LBB9_272:
	s_and_b64 vcc, exec, s[0:1]
	s_cbranch_vccz .LBB9_299
; %bb.273:
	v_readfirstlane_b32 s0, v32
	v_mov_b32_e32 v7, 0
	v_mov_b32_e32 v8, 0
	v_cmp_eq_u32_e64 s[0:1], s0, v32
	s_and_saveexec_b64 s[4:5], s[0:1]
	s_cbranch_execz .LBB9_279
; %bb.274:
	s_waitcnt vmcnt(0)
	v_mov_b32_e32 v0, 0
	global_load_dwordx2 v[9:10], v0, s[2:3] offset:24 glc
	s_waitcnt vmcnt(0)
	buffer_wbinvl1_vol
	global_load_dwordx2 v[1:2], v0, s[2:3] offset:40
	global_load_dwordx2 v[6:7], v0, s[2:3]
	s_waitcnt vmcnt(1)
	v_and_b32_e32 v1, v1, v9
	v_and_b32_e32 v2, v2, v10
	v_mul_lo_u32 v2, v2, 24
	v_mul_hi_u32 v3, v1, 24
	v_mul_lo_u32 v1, v1, 24
	v_add_u32_e32 v2, v3, v2
	s_waitcnt vmcnt(0)
	v_add_co_u32_e32 v1, vcc, v6, v1
	v_addc_co_u32_e32 v2, vcc, v7, v2, vcc
	global_load_dwordx2 v[7:8], v[1:2], off glc
	s_waitcnt vmcnt(0)
	global_atomic_cmpswap_x2 v[7:8], v0, v[7:10], s[2:3] offset:24 glc
	s_waitcnt vmcnt(0)
	buffer_wbinvl1_vol
	v_cmp_ne_u64_e32 vcc, v[7:8], v[9:10]
	s_and_saveexec_b64 s[6:7], vcc
	s_cbranch_execz .LBB9_278
; %bb.275:
	s_mov_b64 s[8:9], 0
.LBB9_276:                              ; =>This Inner Loop Header: Depth=1
	s_sleep 1
	global_load_dwordx2 v[1:2], v0, s[2:3] offset:40
	global_load_dwordx2 v[11:12], v0, s[2:3]
	v_mov_b32_e32 v10, v8
	v_mov_b32_e32 v9, v7
	s_waitcnt vmcnt(1)
	v_and_b32_e32 v1, v1, v9
	s_waitcnt vmcnt(0)
	v_mad_u64_u32 v[6:7], s[10:11], v1, 24, v[11:12]
	v_and_b32_e32 v2, v2, v10
	v_mov_b32_e32 v1, v7
	v_mad_u64_u32 v[1:2], s[10:11], v2, 24, v[1:2]
	v_mov_b32_e32 v7, v1
	global_load_dwordx2 v[7:8], v[6:7], off glc
	s_waitcnt vmcnt(0)
	global_atomic_cmpswap_x2 v[7:8], v0, v[7:10], s[2:3] offset:24 glc
	s_waitcnt vmcnt(0)
	buffer_wbinvl1_vol
	v_cmp_eq_u64_e32 vcc, v[7:8], v[9:10]
	s_or_b64 s[8:9], vcc, s[8:9]
	s_andn2_b64 exec, exec, s[8:9]
	s_cbranch_execnz .LBB9_276
; %bb.277:
	s_or_b64 exec, exec, s[8:9]
.LBB9_278:
	s_or_b64 exec, exec, s[6:7]
.LBB9_279:
	s_or_b64 exec, exec, s[4:5]
	v_mov_b32_e32 v6, 0
	global_load_dwordx2 v[9:10], v6, s[2:3] offset:40
	global_load_dwordx4 v[0:3], v6, s[2:3]
	v_readfirstlane_b32 s5, v8
	v_readfirstlane_b32 s4, v7
	s_mov_b64 s[6:7], exec
	s_waitcnt vmcnt(1)
	v_readfirstlane_b32 s8, v9
	v_readfirstlane_b32 s9, v10
	s_and_b64 s[8:9], s[8:9], s[4:5]
	s_mul_i32 s10, s9, 24
	s_mul_hi_u32 s11, s8, 24
	s_mul_i32 s12, s8, 24
	s_add_i32 s10, s11, s10
	v_mov_b32_e32 v7, s10
	s_waitcnt vmcnt(0)
	v_add_co_u32_e32 v8, vcc, s12, v0
	v_addc_co_u32_e32 v9, vcc, v1, v7, vcc
	s_and_saveexec_b64 s[10:11], s[0:1]
	s_cbranch_execz .LBB9_281
; %bb.280:
	v_mov_b32_e32 v11, s7
	v_mov_b32_e32 v10, s6
	;; [unrolled: 1-line block ×4, first 2 shown]
	global_store_dwordx4 v[8:9], v[10:13], off offset:8
.LBB9_281:
	s_or_b64 exec, exec, s[10:11]
	s_lshl_b64 s[6:7], s[8:9], 12
	v_mov_b32_e32 v7, s7
	v_add_co_u32_e32 v2, vcc, s6, v2
	v_addc_co_u32_e32 v3, vcc, v3, v7, vcc
	s_movk_i32 s6, 0xff1f
	v_and_or_b32 v4, v4, s6, 32
	v_add_co_u32_e32 v10, vcc, v2, v31
	s_mov_b32 s8, 0
	v_mov_b32_e32 v7, v6
	v_readfirstlane_b32 s6, v2
	v_readfirstlane_b32 s7, v3
	v_addc_co_u32_e32 v11, vcc, 0, v3, vcc
	s_mov_b32 s9, s8
	s_mov_b32 s10, s8
	;; [unrolled: 1-line block ×3, first 2 shown]
	s_nop 0
	global_store_dwordx4 v31, v[4:7], s[6:7]
	v_mov_b32_e32 v2, s8
	v_mov_b32_e32 v3, s9
	;; [unrolled: 1-line block ×4, first 2 shown]
	global_store_dwordx4 v31, v[2:5], s[6:7] offset:16
	global_store_dwordx4 v31, v[2:5], s[6:7] offset:32
	;; [unrolled: 1-line block ×3, first 2 shown]
	s_and_saveexec_b64 s[6:7], s[0:1]
	s_cbranch_execz .LBB9_289
; %bb.282:
	v_mov_b32_e32 v6, 0
	global_load_dwordx2 v[14:15], v6, s[2:3] offset:32 glc
	global_load_dwordx2 v[2:3], v6, s[2:3] offset:40
	v_mov_b32_e32 v12, s4
	v_mov_b32_e32 v13, s5
	s_waitcnt vmcnt(0)
	v_readfirstlane_b32 s8, v2
	v_readfirstlane_b32 s9, v3
	s_and_b64 s[8:9], s[8:9], s[4:5]
	s_mul_i32 s9, s9, 24
	s_mul_hi_u32 s10, s8, 24
	s_mul_i32 s8, s8, 24
	s_add_i32 s9, s10, s9
	v_mov_b32_e32 v2, s9
	v_add_co_u32_e32 v4, vcc, s8, v0
	v_addc_co_u32_e32 v5, vcc, v1, v2, vcc
	global_store_dwordx2 v[4:5], v[14:15], off
	s_waitcnt vmcnt(0)
	global_atomic_cmpswap_x2 v[2:3], v6, v[12:15], s[2:3] offset:32 glc
	s_waitcnt vmcnt(0)
	v_cmp_ne_u64_e32 vcc, v[2:3], v[14:15]
	s_and_saveexec_b64 s[8:9], vcc
	s_cbranch_execz .LBB9_285
; %bb.283:
	s_mov_b64 s[10:11], 0
.LBB9_284:                              ; =>This Inner Loop Header: Depth=1
	s_sleep 1
	global_store_dwordx2 v[4:5], v[2:3], off
	v_mov_b32_e32 v0, s4
	v_mov_b32_e32 v1, s5
	s_waitcnt vmcnt(0)
	global_atomic_cmpswap_x2 v[0:1], v6, v[0:3], s[2:3] offset:32 glc
	s_waitcnt vmcnt(0)
	v_cmp_eq_u64_e32 vcc, v[0:1], v[2:3]
	v_mov_b32_e32 v3, v1
	s_or_b64 s[10:11], vcc, s[10:11]
	v_mov_b32_e32 v2, v0
	s_andn2_b64 exec, exec, s[10:11]
	s_cbranch_execnz .LBB9_284
.LBB9_285:
	s_or_b64 exec, exec, s[8:9]
	v_mov_b32_e32 v3, 0
	global_load_dwordx2 v[0:1], v3, s[2:3] offset:16
	s_mov_b64 s[8:9], exec
	v_mbcnt_lo_u32_b32 v2, s8, 0
	v_mbcnt_hi_u32_b32 v2, s9, v2
	v_cmp_eq_u32_e32 vcc, 0, v2
	s_and_saveexec_b64 s[10:11], vcc
	s_cbranch_execz .LBB9_287
; %bb.286:
	s_bcnt1_i32_b64 s8, s[8:9]
	v_mov_b32_e32 v2, s8
	s_waitcnt vmcnt(0)
	global_atomic_add_x2 v[0:1], v[2:3], off offset:8
.LBB9_287:
	s_or_b64 exec, exec, s[10:11]
	s_waitcnt vmcnt(0)
	global_load_dwordx2 v[2:3], v[0:1], off offset:16
	s_waitcnt vmcnt(0)
	v_cmp_eq_u64_e32 vcc, 0, v[2:3]
	s_cbranch_vccnz .LBB9_289
; %bb.288:
	global_load_dword v0, v[0:1], off offset:24
	v_mov_b32_e32 v1, 0
	s_waitcnt vmcnt(0)
	v_readfirstlane_b32 s8, v0
	s_and_b32 m0, s8, 0xffffff
	global_store_dwordx2 v[2:3], v[0:1], off
	s_sendmsg sendmsg(MSG_INTERRUPT)
.LBB9_289:
	s_or_b64 exec, exec, s[6:7]
	s_branch .LBB9_293
.LBB9_290:                              ;   in Loop: Header=BB9_293 Depth=1
	s_or_b64 exec, exec, s[6:7]
	v_readfirstlane_b32 s6, v0
	s_cmp_eq_u32 s6, 0
	s_cbranch_scc1 .LBB9_292
; %bb.291:                              ;   in Loop: Header=BB9_293 Depth=1
	s_sleep 1
	s_cbranch_execnz .LBB9_293
	s_branch .LBB9_295
.LBB9_292:
	s_branch .LBB9_295
.LBB9_293:                              ; =>This Inner Loop Header: Depth=1
	v_mov_b32_e32 v0, 1
	s_and_saveexec_b64 s[6:7], s[0:1]
	s_cbranch_execz .LBB9_290
; %bb.294:                              ;   in Loop: Header=BB9_293 Depth=1
	global_load_dword v0, v[8:9], off offset:20 glc
	s_waitcnt vmcnt(0)
	buffer_wbinvl1_vol
	v_and_b32_e32 v0, 1, v0
	s_branch .LBB9_290
.LBB9_295:
	global_load_dwordx2 v[0:1], v[10:11], off
	s_and_saveexec_b64 s[6:7], s[0:1]
	s_cbranch_execz .LBB9_298
; %bb.296:
	v_mov_b32_e32 v8, 0
	global_load_dwordx2 v[2:3], v8, s[2:3] offset:40
	global_load_dwordx2 v[11:12], v8, s[2:3] offset:24 glc
	global_load_dwordx2 v[4:5], v8, s[2:3]
	s_waitcnt vmcnt(2)
	v_readfirstlane_b32 s8, v2
	v_readfirstlane_b32 s9, v3
	s_add_u32 s10, s8, 1
	s_addc_u32 s11, s9, 0
	s_add_u32 s0, s10, s4
	s_addc_u32 s1, s11, s5
	s_cmp_eq_u64 s[0:1], 0
	s_cselect_b32 s1, s11, s1
	s_cselect_b32 s0, s10, s0
	s_and_b64 s[4:5], s[0:1], s[8:9]
	s_mul_i32 s5, s5, 24
	s_mul_hi_u32 s8, s4, 24
	s_mul_i32 s4, s4, 24
	s_add_i32 s5, s8, s5
	v_mov_b32_e32 v2, s5
	s_waitcnt vmcnt(0)
	v_add_co_u32_e32 v6, vcc, s4, v4
	v_addc_co_u32_e32 v7, vcc, v5, v2, vcc
	v_mov_b32_e32 v9, s0
	global_store_dwordx2 v[6:7], v[11:12], off
	v_mov_b32_e32 v10, s1
	s_waitcnt vmcnt(0)
	global_atomic_cmpswap_x2 v[4:5], v8, v[9:12], s[2:3] offset:24 glc
	s_mov_b64 s[4:5], 0
	s_waitcnt vmcnt(0)
	v_cmp_ne_u64_e32 vcc, v[4:5], v[11:12]
	s_and_b64 exec, exec, vcc
	s_cbranch_execz .LBB9_298
.LBB9_297:                              ; =>This Inner Loop Header: Depth=1
	s_sleep 1
	global_store_dwordx2 v[6:7], v[4:5], off
	v_mov_b32_e32 v2, s0
	v_mov_b32_e32 v3, s1
	s_waitcnt vmcnt(0)
	global_atomic_cmpswap_x2 v[2:3], v8, v[2:5], s[2:3] offset:24 glc
	s_waitcnt vmcnt(0)
	v_cmp_eq_u64_e32 vcc, v[2:3], v[4:5]
	v_mov_b32_e32 v5, v3
	s_or_b64 s[4:5], vcc, s[4:5]
	v_mov_b32_e32 v4, v2
	s_andn2_b64 exec, exec, s[4:5]
	s_cbranch_execnz .LBB9_297
.LBB9_298:
	s_or_b64 exec, exec, s[6:7]
.LBB9_299:
	s_getpc_b64 s[4:5]
	s_add_u32 s4, s4, __FUNCTION__._ZN9rocsparseL39csr2csr_compress_fill_warp_start_deviceILj256ELj32ELj2EfEEviPKT2_PjS1_@rel32@lo+4
	s_addc_u32 s5, s5, __FUNCTION__._ZN9rocsparseL39csr2csr_compress_fill_warp_start_deviceILj256ELj32ELj2EfEEviPKT2_PjS1_@rel32@hi+12
	s_cmp_lg_u64 s[4:5], 0
	s_cbranch_scc0 .LBB9_384
; %bb.300:
	s_waitcnt vmcnt(0)
	v_and_b32_e32 v29, 2, v0
	v_mov_b32_e32 v26, 0
	v_and_b32_e32 v2, -3, v0
	v_mov_b32_e32 v3, v1
	s_mov_b64 s[6:7], 40
	v_mov_b32_e32 v8, 2
	v_mov_b32_e32 v9, 1
	s_branch .LBB9_302
.LBB9_301:                              ;   in Loop: Header=BB9_302 Depth=1
	s_or_b64 exec, exec, s[12:13]
	s_sub_u32 s6, s6, s8
	s_subb_u32 s7, s7, s9
	s_add_u32 s4, s4, s8
	s_addc_u32 s5, s5, s9
	s_cmp_lg_u64 s[6:7], 0
	s_cbranch_scc0 .LBB9_385
.LBB9_302:                              ; =>This Loop Header: Depth=1
                                        ;     Child Loop BB9_305 Depth 2
                                        ;     Child Loop BB9_313 Depth 2
	;; [unrolled: 1-line block ×11, first 2 shown]
	v_cmp_lt_u64_e64 s[0:1], s[6:7], 56
	v_cmp_gt_u64_e64 s[10:11], s[6:7], 7
	s_and_b64 s[0:1], s[0:1], exec
	s_cselect_b32 s9, s7, 0
	s_cselect_b32 s8, s6, 56
	s_add_u32 s0, s4, 8
	s_addc_u32 s1, s5, 0
	s_and_b64 vcc, exec, s[10:11]
	s_cbranch_vccnz .LBB9_306
; %bb.303:                              ;   in Loop: Header=BB9_302 Depth=1
	s_cmp_eq_u64 s[6:7], 0
	s_cbranch_scc1 .LBB9_307
; %bb.304:                              ;   in Loop: Header=BB9_302 Depth=1
	v_mov_b32_e32 v4, 0
	s_lshl_b64 s[0:1], s[8:9], 3
	s_mov_b64 s[10:11], 0
	v_mov_b32_e32 v5, 0
	s_mov_b64 s[12:13], s[4:5]
.LBB9_305:                              ;   Parent Loop BB9_302 Depth=1
                                        ; =>  This Inner Loop Header: Depth=2
	global_load_ubyte v6, v26, s[12:13]
	s_waitcnt vmcnt(0)
	v_and_b32_e32 v25, 0xffff, v6
	v_lshlrev_b64 v[6:7], s10, v[25:26]
	s_add_u32 s10, s10, 8
	s_addc_u32 s11, s11, 0
	s_add_u32 s12, s12, 1
	s_addc_u32 s13, s13, 0
	v_or_b32_e32 v4, v6, v4
	s_cmp_lg_u32 s0, s10
	v_or_b32_e32 v5, v7, v5
	s_cbranch_scc1 .LBB9_305
	s_branch .LBB9_308
.LBB9_306:                              ;   in Loop: Header=BB9_302 Depth=1
	s_mov_b32 s14, 0
	s_branch .LBB9_309
.LBB9_307:                              ;   in Loop: Header=BB9_302 Depth=1
	v_mov_b32_e32 v4, 0
	v_mov_b32_e32 v5, 0
.LBB9_308:                              ;   in Loop: Header=BB9_302 Depth=1
	s_mov_b64 s[0:1], s[4:5]
	s_mov_b32 s14, 0
	s_cbranch_execnz .LBB9_310
.LBB9_309:                              ;   in Loop: Header=BB9_302 Depth=1
	global_load_dwordx2 v[4:5], v26, s[4:5]
	s_add_i32 s14, s8, -8
.LBB9_310:                              ;   in Loop: Header=BB9_302 Depth=1
	s_add_u32 s10, s0, 8
	s_addc_u32 s11, s1, 0
	s_cmp_gt_u32 s14, 7
	s_cbranch_scc1 .LBB9_314
; %bb.311:                              ;   in Loop: Header=BB9_302 Depth=1
	s_cmp_eq_u32 s14, 0
	s_cbranch_scc1 .LBB9_315
; %bb.312:                              ;   in Loop: Header=BB9_302 Depth=1
	v_mov_b32_e32 v10, 0
	s_mov_b64 s[10:11], 0
	v_mov_b32_e32 v11, 0
	s_mov_b64 s[12:13], 0
.LBB9_313:                              ;   Parent Loop BB9_302 Depth=1
                                        ; =>  This Inner Loop Header: Depth=2
	s_add_u32 s16, s0, s12
	s_addc_u32 s17, s1, s13
	global_load_ubyte v6, v26, s[16:17]
	s_add_u32 s12, s12, 1
	s_addc_u32 s13, s13, 0
	s_waitcnt vmcnt(0)
	v_and_b32_e32 v25, 0xffff, v6
	v_lshlrev_b64 v[6:7], s10, v[25:26]
	s_add_u32 s10, s10, 8
	s_addc_u32 s11, s11, 0
	v_or_b32_e32 v10, v6, v10
	s_cmp_lg_u32 s14, s12
	v_or_b32_e32 v11, v7, v11
	s_cbranch_scc1 .LBB9_313
	s_branch .LBB9_316
.LBB9_314:                              ;   in Loop: Header=BB9_302 Depth=1
                                        ; implicit-def: $vgpr10_vgpr11
	s_mov_b32 s15, 0
	s_branch .LBB9_317
.LBB9_315:                              ;   in Loop: Header=BB9_302 Depth=1
	v_mov_b32_e32 v10, 0
	v_mov_b32_e32 v11, 0
.LBB9_316:                              ;   in Loop: Header=BB9_302 Depth=1
	s_mov_b64 s[10:11], s[0:1]
	s_mov_b32 s15, 0
	s_cbranch_execnz .LBB9_318
.LBB9_317:                              ;   in Loop: Header=BB9_302 Depth=1
	global_load_dwordx2 v[10:11], v26, s[0:1]
	s_add_i32 s15, s14, -8
.LBB9_318:                              ;   in Loop: Header=BB9_302 Depth=1
	s_add_u32 s0, s10, 8
	s_addc_u32 s1, s11, 0
	s_cmp_gt_u32 s15, 7
	s_cbranch_scc1 .LBB9_322
; %bb.319:                              ;   in Loop: Header=BB9_302 Depth=1
	s_cmp_eq_u32 s15, 0
	s_cbranch_scc1 .LBB9_323
; %bb.320:                              ;   in Loop: Header=BB9_302 Depth=1
	v_mov_b32_e32 v12, 0
	s_mov_b64 s[0:1], 0
	v_mov_b32_e32 v13, 0
	s_mov_b64 s[12:13], 0
.LBB9_321:                              ;   Parent Loop BB9_302 Depth=1
                                        ; =>  This Inner Loop Header: Depth=2
	s_add_u32 s16, s10, s12
	s_addc_u32 s17, s11, s13
	global_load_ubyte v6, v26, s[16:17]
	s_add_u32 s12, s12, 1
	s_addc_u32 s13, s13, 0
	s_waitcnt vmcnt(0)
	v_and_b32_e32 v25, 0xffff, v6
	v_lshlrev_b64 v[6:7], s0, v[25:26]
	s_add_u32 s0, s0, 8
	s_addc_u32 s1, s1, 0
	v_or_b32_e32 v12, v6, v12
	s_cmp_lg_u32 s15, s12
	v_or_b32_e32 v13, v7, v13
	s_cbranch_scc1 .LBB9_321
	s_branch .LBB9_324
.LBB9_322:                              ;   in Loop: Header=BB9_302 Depth=1
	s_mov_b32 s14, 0
	s_branch .LBB9_325
.LBB9_323:                              ;   in Loop: Header=BB9_302 Depth=1
	v_mov_b32_e32 v12, 0
	v_mov_b32_e32 v13, 0
.LBB9_324:                              ;   in Loop: Header=BB9_302 Depth=1
	s_mov_b64 s[0:1], s[10:11]
	s_mov_b32 s14, 0
	s_cbranch_execnz .LBB9_326
.LBB9_325:                              ;   in Loop: Header=BB9_302 Depth=1
	global_load_dwordx2 v[12:13], v26, s[10:11]
	s_add_i32 s14, s15, -8
.LBB9_326:                              ;   in Loop: Header=BB9_302 Depth=1
	s_add_u32 s10, s0, 8
	s_addc_u32 s11, s1, 0
	s_cmp_gt_u32 s14, 7
	s_cbranch_scc1 .LBB9_330
; %bb.327:                              ;   in Loop: Header=BB9_302 Depth=1
	s_cmp_eq_u32 s14, 0
	s_cbranch_scc1 .LBB9_331
; %bb.328:                              ;   in Loop: Header=BB9_302 Depth=1
	v_mov_b32_e32 v14, 0
	s_mov_b64 s[10:11], 0
	v_mov_b32_e32 v15, 0
	s_mov_b64 s[12:13], 0
.LBB9_329:                              ;   Parent Loop BB9_302 Depth=1
                                        ; =>  This Inner Loop Header: Depth=2
	s_add_u32 s16, s0, s12
	s_addc_u32 s17, s1, s13
	global_load_ubyte v6, v26, s[16:17]
	s_add_u32 s12, s12, 1
	s_addc_u32 s13, s13, 0
	s_waitcnt vmcnt(0)
	v_and_b32_e32 v25, 0xffff, v6
	v_lshlrev_b64 v[6:7], s10, v[25:26]
	s_add_u32 s10, s10, 8
	s_addc_u32 s11, s11, 0
	v_or_b32_e32 v14, v6, v14
	s_cmp_lg_u32 s14, s12
	v_or_b32_e32 v15, v7, v15
	s_cbranch_scc1 .LBB9_329
	s_branch .LBB9_332
.LBB9_330:                              ;   in Loop: Header=BB9_302 Depth=1
                                        ; implicit-def: $vgpr14_vgpr15
	s_mov_b32 s15, 0
	s_branch .LBB9_333
.LBB9_331:                              ;   in Loop: Header=BB9_302 Depth=1
	v_mov_b32_e32 v14, 0
	v_mov_b32_e32 v15, 0
.LBB9_332:                              ;   in Loop: Header=BB9_302 Depth=1
	s_mov_b64 s[10:11], s[0:1]
	s_mov_b32 s15, 0
	s_cbranch_execnz .LBB9_334
.LBB9_333:                              ;   in Loop: Header=BB9_302 Depth=1
	global_load_dwordx2 v[14:15], v26, s[0:1]
	s_add_i32 s15, s14, -8
.LBB9_334:                              ;   in Loop: Header=BB9_302 Depth=1
	s_add_u32 s0, s10, 8
	s_addc_u32 s1, s11, 0
	s_cmp_gt_u32 s15, 7
	s_cbranch_scc1 .LBB9_338
; %bb.335:                              ;   in Loop: Header=BB9_302 Depth=1
	s_cmp_eq_u32 s15, 0
	s_cbranch_scc1 .LBB9_339
; %bb.336:                              ;   in Loop: Header=BB9_302 Depth=1
	v_mov_b32_e32 v16, 0
	s_mov_b64 s[0:1], 0
	v_mov_b32_e32 v17, 0
	s_mov_b64 s[12:13], 0
.LBB9_337:                              ;   Parent Loop BB9_302 Depth=1
                                        ; =>  This Inner Loop Header: Depth=2
	s_add_u32 s16, s10, s12
	s_addc_u32 s17, s11, s13
	global_load_ubyte v6, v26, s[16:17]
	s_add_u32 s12, s12, 1
	s_addc_u32 s13, s13, 0
	s_waitcnt vmcnt(0)
	v_and_b32_e32 v25, 0xffff, v6
	v_lshlrev_b64 v[6:7], s0, v[25:26]
	s_add_u32 s0, s0, 8
	s_addc_u32 s1, s1, 0
	v_or_b32_e32 v16, v6, v16
	s_cmp_lg_u32 s15, s12
	v_or_b32_e32 v17, v7, v17
	s_cbranch_scc1 .LBB9_337
	s_branch .LBB9_340
.LBB9_338:                              ;   in Loop: Header=BB9_302 Depth=1
	s_mov_b32 s14, 0
	s_branch .LBB9_341
.LBB9_339:                              ;   in Loop: Header=BB9_302 Depth=1
	v_mov_b32_e32 v16, 0
	v_mov_b32_e32 v17, 0
.LBB9_340:                              ;   in Loop: Header=BB9_302 Depth=1
	s_mov_b64 s[0:1], s[10:11]
	s_mov_b32 s14, 0
	s_cbranch_execnz .LBB9_342
.LBB9_341:                              ;   in Loop: Header=BB9_302 Depth=1
	global_load_dwordx2 v[16:17], v26, s[10:11]
	s_add_i32 s14, s15, -8
.LBB9_342:                              ;   in Loop: Header=BB9_302 Depth=1
	s_add_u32 s10, s0, 8
	s_addc_u32 s11, s1, 0
	s_cmp_gt_u32 s14, 7
	s_cbranch_scc1 .LBB9_346
; %bb.343:                              ;   in Loop: Header=BB9_302 Depth=1
	s_cmp_eq_u32 s14, 0
	s_cbranch_scc1 .LBB9_347
; %bb.344:                              ;   in Loop: Header=BB9_302 Depth=1
	v_mov_b32_e32 v18, 0
	s_mov_b64 s[10:11], 0
	v_mov_b32_e32 v19, 0
	s_mov_b64 s[12:13], 0
.LBB9_345:                              ;   Parent Loop BB9_302 Depth=1
                                        ; =>  This Inner Loop Header: Depth=2
	s_add_u32 s16, s0, s12
	s_addc_u32 s17, s1, s13
	global_load_ubyte v6, v26, s[16:17]
	s_add_u32 s12, s12, 1
	s_addc_u32 s13, s13, 0
	s_waitcnt vmcnt(0)
	v_and_b32_e32 v25, 0xffff, v6
	v_lshlrev_b64 v[6:7], s10, v[25:26]
	s_add_u32 s10, s10, 8
	s_addc_u32 s11, s11, 0
	v_or_b32_e32 v18, v6, v18
	s_cmp_lg_u32 s14, s12
	v_or_b32_e32 v19, v7, v19
	s_cbranch_scc1 .LBB9_345
	s_branch .LBB9_348
.LBB9_346:                              ;   in Loop: Header=BB9_302 Depth=1
                                        ; implicit-def: $vgpr18_vgpr19
	s_mov_b32 s15, 0
	s_branch .LBB9_349
.LBB9_347:                              ;   in Loop: Header=BB9_302 Depth=1
	v_mov_b32_e32 v18, 0
	v_mov_b32_e32 v19, 0
.LBB9_348:                              ;   in Loop: Header=BB9_302 Depth=1
	s_mov_b64 s[10:11], s[0:1]
	s_mov_b32 s15, 0
	s_cbranch_execnz .LBB9_350
.LBB9_349:                              ;   in Loop: Header=BB9_302 Depth=1
	global_load_dwordx2 v[18:19], v26, s[0:1]
	s_add_i32 s15, s14, -8
.LBB9_350:                              ;   in Loop: Header=BB9_302 Depth=1
	s_cmp_gt_u32 s15, 7
	s_cbranch_scc1 .LBB9_354
; %bb.351:                              ;   in Loop: Header=BB9_302 Depth=1
	s_cmp_eq_u32 s15, 0
	s_cbranch_scc1 .LBB9_355
; %bb.352:                              ;   in Loop: Header=BB9_302 Depth=1
	v_mov_b32_e32 v20, 0
	s_mov_b64 s[0:1], 0
	v_mov_b32_e32 v21, 0
	s_mov_b64 s[12:13], s[10:11]
.LBB9_353:                              ;   Parent Loop BB9_302 Depth=1
                                        ; =>  This Inner Loop Header: Depth=2
	global_load_ubyte v6, v26, s[12:13]
	s_add_i32 s15, s15, -1
	s_waitcnt vmcnt(0)
	v_and_b32_e32 v25, 0xffff, v6
	v_lshlrev_b64 v[6:7], s0, v[25:26]
	s_add_u32 s0, s0, 8
	s_addc_u32 s1, s1, 0
	s_add_u32 s12, s12, 1
	s_addc_u32 s13, s13, 0
	v_or_b32_e32 v20, v6, v20
	s_cmp_lg_u32 s15, 0
	v_or_b32_e32 v21, v7, v21
	s_cbranch_scc1 .LBB9_353
	s_branch .LBB9_356
.LBB9_354:                              ;   in Loop: Header=BB9_302 Depth=1
	s_branch .LBB9_357
.LBB9_355:                              ;   in Loop: Header=BB9_302 Depth=1
	v_mov_b32_e32 v20, 0
	v_mov_b32_e32 v21, 0
.LBB9_356:                              ;   in Loop: Header=BB9_302 Depth=1
	s_cbranch_execnz .LBB9_358
.LBB9_357:                              ;   in Loop: Header=BB9_302 Depth=1
	global_load_dwordx2 v[20:21], v26, s[10:11]
.LBB9_358:                              ;   in Loop: Header=BB9_302 Depth=1
	v_readfirstlane_b32 s0, v32
	v_mov_b32_e32 v6, 0
	v_mov_b32_e32 v7, 0
	v_cmp_eq_u32_e64 s[0:1], s0, v32
	s_and_saveexec_b64 s[10:11], s[0:1]
	s_cbranch_execz .LBB9_364
; %bb.359:                              ;   in Loop: Header=BB9_302 Depth=1
	global_load_dwordx2 v[24:25], v26, s[2:3] offset:24 glc
	s_waitcnt vmcnt(0)
	buffer_wbinvl1_vol
	global_load_dwordx2 v[6:7], v26, s[2:3] offset:40
	global_load_dwordx2 v[22:23], v26, s[2:3]
	s_waitcnt vmcnt(1)
	v_and_b32_e32 v6, v6, v24
	v_and_b32_e32 v7, v7, v25
	v_mul_lo_u32 v7, v7, 24
	v_mul_hi_u32 v27, v6, 24
	v_mul_lo_u32 v6, v6, 24
	v_add_u32_e32 v7, v27, v7
	s_waitcnt vmcnt(0)
	v_add_co_u32_e32 v6, vcc, v22, v6
	v_addc_co_u32_e32 v7, vcc, v23, v7, vcc
	global_load_dwordx2 v[22:23], v[6:7], off glc
	s_waitcnt vmcnt(0)
	global_atomic_cmpswap_x2 v[6:7], v26, v[22:25], s[2:3] offset:24 glc
	s_waitcnt vmcnt(0)
	buffer_wbinvl1_vol
	v_cmp_ne_u64_e32 vcc, v[6:7], v[24:25]
	s_and_saveexec_b64 s[12:13], vcc
	s_cbranch_execz .LBB9_363
; %bb.360:                              ;   in Loop: Header=BB9_302 Depth=1
	s_mov_b64 s[14:15], 0
.LBB9_361:                              ;   Parent Loop BB9_302 Depth=1
                                        ; =>  This Inner Loop Header: Depth=2
	s_sleep 1
	global_load_dwordx2 v[22:23], v26, s[2:3] offset:40
	global_load_dwordx2 v[27:28], v26, s[2:3]
	v_mov_b32_e32 v25, v7
	v_mov_b32_e32 v24, v6
	s_waitcnt vmcnt(1)
	v_and_b32_e32 v6, v22, v24
	s_waitcnt vmcnt(0)
	v_mad_u64_u32 v[6:7], s[16:17], v6, 24, v[27:28]
	v_and_b32_e32 v22, v23, v25
	v_mad_u64_u32 v[22:23], s[16:17], v22, 24, v[7:8]
	v_mov_b32_e32 v7, v22
	global_load_dwordx2 v[22:23], v[6:7], off glc
	s_waitcnt vmcnt(0)
	global_atomic_cmpswap_x2 v[6:7], v26, v[22:25], s[2:3] offset:24 glc
	s_waitcnt vmcnt(0)
	buffer_wbinvl1_vol
	v_cmp_eq_u64_e32 vcc, v[6:7], v[24:25]
	s_or_b64 s[14:15], vcc, s[14:15]
	s_andn2_b64 exec, exec, s[14:15]
	s_cbranch_execnz .LBB9_361
; %bb.362:                              ;   in Loop: Header=BB9_302 Depth=1
	s_or_b64 exec, exec, s[14:15]
.LBB9_363:                              ;   in Loop: Header=BB9_302 Depth=1
	s_or_b64 exec, exec, s[12:13]
.LBB9_364:                              ;   in Loop: Header=BB9_302 Depth=1
	s_or_b64 exec, exec, s[10:11]
	global_load_dwordx2 v[27:28], v26, s[2:3] offset:40
	global_load_dwordx4 v[22:25], v26, s[2:3]
	v_readfirstlane_b32 s11, v7
	v_readfirstlane_b32 s10, v6
	s_mov_b64 s[12:13], exec
	s_waitcnt vmcnt(1)
	v_readfirstlane_b32 s14, v27
	v_readfirstlane_b32 s15, v28
	s_and_b64 s[14:15], s[14:15], s[10:11]
	s_mul_i32 s16, s15, 24
	s_mul_hi_u32 s17, s14, 24
	s_mul_i32 s18, s14, 24
	s_add_i32 s16, s17, s16
	v_mov_b32_e32 v6, s16
	s_waitcnt vmcnt(0)
	v_add_co_u32_e32 v27, vcc, s18, v22
	v_addc_co_u32_e32 v28, vcc, v23, v6, vcc
	s_and_saveexec_b64 s[16:17], s[0:1]
	s_cbranch_execz .LBB9_366
; %bb.365:                              ;   in Loop: Header=BB9_302 Depth=1
	v_mov_b32_e32 v6, s12
	v_mov_b32_e32 v7, s13
	global_store_dwordx4 v[27:28], v[6:9], off offset:8
.LBB9_366:                              ;   in Loop: Header=BB9_302 Depth=1
	s_or_b64 exec, exec, s[16:17]
	s_lshl_b64 s[12:13], s[14:15], 12
	v_mov_b32_e32 v6, s13
	v_add_co_u32_e32 v24, vcc, s12, v24
	v_addc_co_u32_e32 v30, vcc, v25, v6, vcc
	v_cmp_lt_u64_e64 vcc, s[6:7], 57
	s_lshl_b32 s12, s8, 2
	v_cndmask_b32_e32 v6, 0, v29, vcc
	s_add_i32 s12, s12, 28
	v_and_b32_e32 v2, 0xffffff1f, v2
	s_and_b32 s12, s12, 0x1e0
	v_or_b32_e32 v2, v2, v6
	v_or_b32_e32 v2, s12, v2
	v_readfirstlane_b32 s12, v24
	v_readfirstlane_b32 s13, v30
	s_nop 4
	global_store_dwordx4 v31, v[2:5], s[12:13]
	global_store_dwordx4 v31, v[10:13], s[12:13] offset:16
	global_store_dwordx4 v31, v[14:17], s[12:13] offset:32
	;; [unrolled: 1-line block ×3, first 2 shown]
	s_and_saveexec_b64 s[12:13], s[0:1]
	s_cbranch_execz .LBB9_374
; %bb.367:                              ;   in Loop: Header=BB9_302 Depth=1
	global_load_dwordx2 v[12:13], v26, s[2:3] offset:32 glc
	global_load_dwordx2 v[2:3], v26, s[2:3] offset:40
	v_mov_b32_e32 v10, s10
	v_mov_b32_e32 v11, s11
	s_waitcnt vmcnt(0)
	v_readfirstlane_b32 s14, v2
	v_readfirstlane_b32 s15, v3
	s_and_b64 s[14:15], s[14:15], s[10:11]
	s_mul_i32 s15, s15, 24
	s_mul_hi_u32 s16, s14, 24
	s_mul_i32 s14, s14, 24
	s_add_i32 s15, s16, s15
	v_mov_b32_e32 v2, s15
	v_add_co_u32_e32 v6, vcc, s14, v22
	v_addc_co_u32_e32 v7, vcc, v23, v2, vcc
	global_store_dwordx2 v[6:7], v[12:13], off
	s_waitcnt vmcnt(0)
	global_atomic_cmpswap_x2 v[4:5], v26, v[10:13], s[2:3] offset:32 glc
	s_waitcnt vmcnt(0)
	v_cmp_ne_u64_e32 vcc, v[4:5], v[12:13]
	s_and_saveexec_b64 s[14:15], vcc
	s_cbranch_execz .LBB9_370
; %bb.368:                              ;   in Loop: Header=BB9_302 Depth=1
	s_mov_b64 s[16:17], 0
.LBB9_369:                              ;   Parent Loop BB9_302 Depth=1
                                        ; =>  This Inner Loop Header: Depth=2
	s_sleep 1
	global_store_dwordx2 v[6:7], v[4:5], off
	v_mov_b32_e32 v2, s10
	v_mov_b32_e32 v3, s11
	s_waitcnt vmcnt(0)
	global_atomic_cmpswap_x2 v[2:3], v26, v[2:5], s[2:3] offset:32 glc
	s_waitcnt vmcnt(0)
	v_cmp_eq_u64_e32 vcc, v[2:3], v[4:5]
	v_mov_b32_e32 v5, v3
	s_or_b64 s[16:17], vcc, s[16:17]
	v_mov_b32_e32 v4, v2
	s_andn2_b64 exec, exec, s[16:17]
	s_cbranch_execnz .LBB9_369
.LBB9_370:                              ;   in Loop: Header=BB9_302 Depth=1
	s_or_b64 exec, exec, s[14:15]
	global_load_dwordx2 v[2:3], v26, s[2:3] offset:16
	s_mov_b64 s[16:17], exec
	v_mbcnt_lo_u32_b32 v4, s16, 0
	v_mbcnt_hi_u32_b32 v4, s17, v4
	v_cmp_eq_u32_e32 vcc, 0, v4
	s_and_saveexec_b64 s[14:15], vcc
	s_cbranch_execz .LBB9_372
; %bb.371:                              ;   in Loop: Header=BB9_302 Depth=1
	s_bcnt1_i32_b64 s16, s[16:17]
	v_mov_b32_e32 v25, s16
	s_waitcnt vmcnt(0)
	global_atomic_add_x2 v[2:3], v[25:26], off offset:8
.LBB9_372:                              ;   in Loop: Header=BB9_302 Depth=1
	s_or_b64 exec, exec, s[14:15]
	s_waitcnt vmcnt(0)
	global_load_dwordx2 v[4:5], v[2:3], off offset:16
	s_waitcnt vmcnt(0)
	v_cmp_eq_u64_e32 vcc, 0, v[4:5]
	s_cbranch_vccnz .LBB9_374
; %bb.373:                              ;   in Loop: Header=BB9_302 Depth=1
	global_load_dword v25, v[2:3], off offset:24
	s_waitcnt vmcnt(0)
	v_readfirstlane_b32 s14, v25
	s_and_b32 m0, s14, 0xffffff
	global_store_dwordx2 v[4:5], v[25:26], off
	s_sendmsg sendmsg(MSG_INTERRUPT)
.LBB9_374:                              ;   in Loop: Header=BB9_302 Depth=1
	s_or_b64 exec, exec, s[12:13]
	v_add_co_u32_e32 v2, vcc, v24, v31
	v_addc_co_u32_e32 v3, vcc, 0, v30, vcc
	s_branch .LBB9_378
.LBB9_375:                              ;   in Loop: Header=BB9_378 Depth=2
	s_or_b64 exec, exec, s[12:13]
	v_readfirstlane_b32 s12, v4
	s_cmp_eq_u32 s12, 0
	s_cbranch_scc1 .LBB9_377
; %bb.376:                              ;   in Loop: Header=BB9_378 Depth=2
	s_sleep 1
	s_cbranch_execnz .LBB9_378
	s_branch .LBB9_380
.LBB9_377:                              ;   in Loop: Header=BB9_302 Depth=1
	s_branch .LBB9_380
.LBB9_378:                              ;   Parent Loop BB9_302 Depth=1
                                        ; =>  This Inner Loop Header: Depth=2
	v_mov_b32_e32 v4, 1
	s_and_saveexec_b64 s[12:13], s[0:1]
	s_cbranch_execz .LBB9_375
; %bb.379:                              ;   in Loop: Header=BB9_378 Depth=2
	global_load_dword v4, v[27:28], off offset:20 glc
	s_waitcnt vmcnt(0)
	buffer_wbinvl1_vol
	v_and_b32_e32 v4, 1, v4
	s_branch .LBB9_375
.LBB9_380:                              ;   in Loop: Header=BB9_302 Depth=1
	global_load_dwordx2 v[2:3], v[2:3], off
	s_and_saveexec_b64 s[12:13], s[0:1]
	s_cbranch_execz .LBB9_301
; %bb.381:                              ;   in Loop: Header=BB9_302 Depth=1
	global_load_dwordx2 v[4:5], v26, s[2:3] offset:40
	global_load_dwordx2 v[14:15], v26, s[2:3] offset:24 glc
	global_load_dwordx2 v[6:7], v26, s[2:3]
	s_waitcnt vmcnt(2)
	v_readfirstlane_b32 s14, v4
	v_readfirstlane_b32 s15, v5
	s_add_u32 s16, s14, 1
	s_addc_u32 s17, s15, 0
	s_add_u32 s0, s16, s10
	s_addc_u32 s1, s17, s11
	s_cmp_eq_u64 s[0:1], 0
	s_cselect_b32 s1, s17, s1
	s_cselect_b32 s0, s16, s0
	s_and_b64 s[10:11], s[0:1], s[14:15]
	s_mul_i32 s11, s11, 24
	s_mul_hi_u32 s14, s10, 24
	s_mul_i32 s10, s10, 24
	s_add_i32 s11, s14, s11
	v_mov_b32_e32 v4, s11
	s_waitcnt vmcnt(0)
	v_add_co_u32_e32 v10, vcc, s10, v6
	v_addc_co_u32_e32 v11, vcc, v7, v4, vcc
	v_mov_b32_e32 v12, s0
	global_store_dwordx2 v[10:11], v[14:15], off
	v_mov_b32_e32 v13, s1
	s_waitcnt vmcnt(0)
	global_atomic_cmpswap_x2 v[6:7], v26, v[12:15], s[2:3] offset:24 glc
	s_waitcnt vmcnt(0)
	v_cmp_ne_u64_e32 vcc, v[6:7], v[14:15]
	s_and_b64 exec, exec, vcc
	s_cbranch_execz .LBB9_301
; %bb.382:                              ;   in Loop: Header=BB9_302 Depth=1
	s_mov_b64 s[10:11], 0
.LBB9_383:                              ;   Parent Loop BB9_302 Depth=1
                                        ; =>  This Inner Loop Header: Depth=2
	s_sleep 1
	global_store_dwordx2 v[10:11], v[6:7], off
	v_mov_b32_e32 v4, s0
	v_mov_b32_e32 v5, s1
	s_waitcnt vmcnt(0)
	global_atomic_cmpswap_x2 v[4:5], v26, v[4:7], s[2:3] offset:24 glc
	s_waitcnt vmcnt(0)
	v_cmp_eq_u64_e32 vcc, v[4:5], v[6:7]
	v_mov_b32_e32 v7, v5
	s_or_b64 s[10:11], vcc, s[10:11]
	v_mov_b32_e32 v6, v4
	s_andn2_b64 exec, exec, s[10:11]
	s_cbranch_execnz .LBB9_383
	s_branch .LBB9_301
.LBB9_384:
	s_mov_b64 s[0:1], -1
                                        ; implicit-def: $vgpr2_vgpr3
	s_branch .LBB9_386
.LBB9_385:
	s_mov_b64 s[0:1], 0
.LBB9_386:
	s_and_b64 vcc, exec, s[0:1]
	s_cbranch_vccz .LBB9_413
; %bb.387:
	v_readfirstlane_b32 s0, v32
	v_mov_b32_e32 v8, 0
	v_mov_b32_e32 v9, 0
	v_cmp_eq_u32_e64 s[0:1], s0, v32
	s_and_saveexec_b64 s[4:5], s[0:1]
	s_cbranch_execz .LBB9_393
; %bb.388:
	s_waitcnt vmcnt(0)
	v_mov_b32_e32 v2, 0
	global_load_dwordx2 v[5:6], v2, s[2:3] offset:24 glc
	s_waitcnt vmcnt(0)
	buffer_wbinvl1_vol
	global_load_dwordx2 v[3:4], v2, s[2:3] offset:40
	global_load_dwordx2 v[7:8], v2, s[2:3]
	s_waitcnt vmcnt(1)
	v_and_b32_e32 v3, v3, v5
	v_and_b32_e32 v4, v4, v6
	v_mul_lo_u32 v4, v4, 24
	v_mul_hi_u32 v9, v3, 24
	v_mul_lo_u32 v3, v3, 24
	v_add_u32_e32 v4, v9, v4
	s_waitcnt vmcnt(0)
	v_add_co_u32_e32 v3, vcc, v7, v3
	v_addc_co_u32_e32 v4, vcc, v8, v4, vcc
	global_load_dwordx2 v[3:4], v[3:4], off glc
	s_waitcnt vmcnt(0)
	global_atomic_cmpswap_x2 v[8:9], v2, v[3:6], s[2:3] offset:24 glc
	s_waitcnt vmcnt(0)
	buffer_wbinvl1_vol
	v_cmp_ne_u64_e32 vcc, v[8:9], v[5:6]
	s_and_saveexec_b64 s[6:7], vcc
	s_cbranch_execz .LBB9_392
; %bb.389:
	s_mov_b64 s[8:9], 0
.LBB9_390:                              ; =>This Inner Loop Header: Depth=1
	s_sleep 1
	global_load_dwordx2 v[3:4], v2, s[2:3] offset:40
	global_load_dwordx2 v[10:11], v2, s[2:3]
	v_mov_b32_e32 v5, v8
	v_mov_b32_e32 v6, v9
	s_waitcnt vmcnt(1)
	v_and_b32_e32 v3, v3, v5
	s_waitcnt vmcnt(0)
	v_mad_u64_u32 v[7:8], s[10:11], v3, 24, v[10:11]
	v_and_b32_e32 v4, v4, v6
	v_mov_b32_e32 v3, v8
	v_mad_u64_u32 v[3:4], s[10:11], v4, 24, v[3:4]
	v_mov_b32_e32 v8, v3
	global_load_dwordx2 v[3:4], v[7:8], off glc
	s_waitcnt vmcnt(0)
	global_atomic_cmpswap_x2 v[8:9], v2, v[3:6], s[2:3] offset:24 glc
	s_waitcnt vmcnt(0)
	buffer_wbinvl1_vol
	v_cmp_eq_u64_e32 vcc, v[8:9], v[5:6]
	s_or_b64 s[8:9], vcc, s[8:9]
	s_andn2_b64 exec, exec, s[8:9]
	s_cbranch_execnz .LBB9_390
; %bb.391:
	s_or_b64 exec, exec, s[8:9]
.LBB9_392:
	s_or_b64 exec, exec, s[6:7]
.LBB9_393:
	s_or_b64 exec, exec, s[4:5]
	s_waitcnt vmcnt(0)
	v_mov_b32_e32 v2, 0
	global_load_dwordx2 v[10:11], v2, s[2:3] offset:40
	global_load_dwordx4 v[4:7], v2, s[2:3]
	v_readfirstlane_b32 s5, v9
	v_readfirstlane_b32 s4, v8
	s_mov_b64 s[6:7], exec
	s_waitcnt vmcnt(1)
	v_readfirstlane_b32 s8, v10
	v_readfirstlane_b32 s9, v11
	s_and_b64 s[8:9], s[8:9], s[4:5]
	s_mul_i32 s10, s9, 24
	s_mul_hi_u32 s11, s8, 24
	s_mul_i32 s12, s8, 24
	s_add_i32 s10, s11, s10
	v_mov_b32_e32 v3, s10
	s_waitcnt vmcnt(0)
	v_add_co_u32_e32 v8, vcc, s12, v4
	v_addc_co_u32_e32 v9, vcc, v5, v3, vcc
	s_and_saveexec_b64 s[10:11], s[0:1]
	s_cbranch_execz .LBB9_395
; %bb.394:
	v_mov_b32_e32 v11, s7
	v_mov_b32_e32 v10, s6
	v_mov_b32_e32 v12, 2
	v_mov_b32_e32 v13, 1
	global_store_dwordx4 v[8:9], v[10:13], off offset:8
.LBB9_395:
	s_or_b64 exec, exec, s[10:11]
	s_lshl_b64 s[6:7], s[8:9], 12
	v_mov_b32_e32 v3, s7
	v_add_co_u32_e32 v10, vcc, s6, v6
	v_addc_co_u32_e32 v11, vcc, v7, v3, vcc
	s_movk_i32 s6, 0xff1f
	v_and_or_b32 v0, v0, s6, 32
	s_mov_b32 s8, 0
	v_mov_b32_e32 v3, v2
	v_readfirstlane_b32 s6, v10
	v_readfirstlane_b32 s7, v11
	v_add_co_u32_e32 v6, vcc, v10, v31
	s_mov_b32 s9, s8
	s_mov_b32 s10, s8
	;; [unrolled: 1-line block ×3, first 2 shown]
	s_nop 0
	global_store_dwordx4 v31, v[0:3], s[6:7]
	v_addc_co_u32_e32 v7, vcc, 0, v11, vcc
	v_mov_b32_e32 v0, s8
	v_mov_b32_e32 v1, s9
	;; [unrolled: 1-line block ×4, first 2 shown]
	global_store_dwordx4 v31, v[0:3], s[6:7] offset:16
	global_store_dwordx4 v31, v[0:3], s[6:7] offset:32
	;; [unrolled: 1-line block ×3, first 2 shown]
	s_and_saveexec_b64 s[6:7], s[0:1]
	s_cbranch_execz .LBB9_403
; %bb.396:
	v_mov_b32_e32 v10, 0
	global_load_dwordx2 v[13:14], v10, s[2:3] offset:32 glc
	global_load_dwordx2 v[0:1], v10, s[2:3] offset:40
	v_mov_b32_e32 v11, s4
	v_mov_b32_e32 v12, s5
	s_waitcnt vmcnt(0)
	v_readfirstlane_b32 s8, v0
	v_readfirstlane_b32 s9, v1
	s_and_b64 s[8:9], s[8:9], s[4:5]
	s_mul_i32 s9, s9, 24
	s_mul_hi_u32 s10, s8, 24
	s_mul_i32 s8, s8, 24
	s_add_i32 s9, s10, s9
	v_mov_b32_e32 v0, s9
	v_add_co_u32_e32 v4, vcc, s8, v4
	v_addc_co_u32_e32 v5, vcc, v5, v0, vcc
	global_store_dwordx2 v[4:5], v[13:14], off
	s_waitcnt vmcnt(0)
	global_atomic_cmpswap_x2 v[2:3], v10, v[11:14], s[2:3] offset:32 glc
	s_waitcnt vmcnt(0)
	v_cmp_ne_u64_e32 vcc, v[2:3], v[13:14]
	s_and_saveexec_b64 s[8:9], vcc
	s_cbranch_execz .LBB9_399
; %bb.397:
	s_mov_b64 s[10:11], 0
.LBB9_398:                              ; =>This Inner Loop Header: Depth=1
	s_sleep 1
	global_store_dwordx2 v[4:5], v[2:3], off
	v_mov_b32_e32 v0, s4
	v_mov_b32_e32 v1, s5
	s_waitcnt vmcnt(0)
	global_atomic_cmpswap_x2 v[0:1], v10, v[0:3], s[2:3] offset:32 glc
	s_waitcnt vmcnt(0)
	v_cmp_eq_u64_e32 vcc, v[0:1], v[2:3]
	v_mov_b32_e32 v3, v1
	s_or_b64 s[10:11], vcc, s[10:11]
	v_mov_b32_e32 v2, v0
	s_andn2_b64 exec, exec, s[10:11]
	s_cbranch_execnz .LBB9_398
.LBB9_399:
	s_or_b64 exec, exec, s[8:9]
	v_mov_b32_e32 v3, 0
	global_load_dwordx2 v[0:1], v3, s[2:3] offset:16
	s_mov_b64 s[8:9], exec
	v_mbcnt_lo_u32_b32 v2, s8, 0
	v_mbcnt_hi_u32_b32 v2, s9, v2
	v_cmp_eq_u32_e32 vcc, 0, v2
	s_and_saveexec_b64 s[10:11], vcc
	s_cbranch_execz .LBB9_401
; %bb.400:
	s_bcnt1_i32_b64 s8, s[8:9]
	v_mov_b32_e32 v2, s8
	s_waitcnt vmcnt(0)
	global_atomic_add_x2 v[0:1], v[2:3], off offset:8
.LBB9_401:
	s_or_b64 exec, exec, s[10:11]
	s_waitcnt vmcnt(0)
	global_load_dwordx2 v[2:3], v[0:1], off offset:16
	s_waitcnt vmcnt(0)
	v_cmp_eq_u64_e32 vcc, 0, v[2:3]
	s_cbranch_vccnz .LBB9_403
; %bb.402:
	global_load_dword v0, v[0:1], off offset:24
	v_mov_b32_e32 v1, 0
	s_waitcnt vmcnt(0)
	v_readfirstlane_b32 s8, v0
	s_and_b32 m0, s8, 0xffffff
	global_store_dwordx2 v[2:3], v[0:1], off
	s_sendmsg sendmsg(MSG_INTERRUPT)
.LBB9_403:
	s_or_b64 exec, exec, s[6:7]
	s_branch .LBB9_407
.LBB9_404:                              ;   in Loop: Header=BB9_407 Depth=1
	s_or_b64 exec, exec, s[6:7]
	v_readfirstlane_b32 s6, v0
	s_cmp_eq_u32 s6, 0
	s_cbranch_scc1 .LBB9_406
; %bb.405:                              ;   in Loop: Header=BB9_407 Depth=1
	s_sleep 1
	s_cbranch_execnz .LBB9_407
	s_branch .LBB9_409
.LBB9_406:
	s_branch .LBB9_409
.LBB9_407:                              ; =>This Inner Loop Header: Depth=1
	v_mov_b32_e32 v0, 1
	s_and_saveexec_b64 s[6:7], s[0:1]
	s_cbranch_execz .LBB9_404
; %bb.408:                              ;   in Loop: Header=BB9_407 Depth=1
	global_load_dword v0, v[8:9], off offset:20 glc
	s_waitcnt vmcnt(0)
	buffer_wbinvl1_vol
	v_and_b32_e32 v0, 1, v0
	s_branch .LBB9_404
.LBB9_409:
	global_load_dwordx2 v[2:3], v[6:7], off
	s_and_saveexec_b64 s[6:7], s[0:1]
	s_cbranch_execz .LBB9_412
; %bb.410:
	v_mov_b32_e32 v8, 0
	global_load_dwordx2 v[0:1], v8, s[2:3] offset:40
	global_load_dwordx2 v[11:12], v8, s[2:3] offset:24 glc
	global_load_dwordx2 v[4:5], v8, s[2:3]
	s_waitcnt vmcnt(2)
	v_readfirstlane_b32 s8, v0
	v_readfirstlane_b32 s9, v1
	s_add_u32 s10, s8, 1
	s_addc_u32 s11, s9, 0
	s_add_u32 s0, s10, s4
	s_addc_u32 s1, s11, s5
	s_cmp_eq_u64 s[0:1], 0
	s_cselect_b32 s1, s11, s1
	s_cselect_b32 s0, s10, s0
	s_and_b64 s[4:5], s[0:1], s[8:9]
	s_mul_i32 s5, s5, 24
	s_mul_hi_u32 s8, s4, 24
	s_mul_i32 s4, s4, 24
	s_add_i32 s5, s8, s5
	v_mov_b32_e32 v1, s5
	s_waitcnt vmcnt(0)
	v_add_co_u32_e32 v0, vcc, s4, v4
	v_addc_co_u32_e32 v1, vcc, v5, v1, vcc
	v_mov_b32_e32 v9, s0
	global_store_dwordx2 v[0:1], v[11:12], off
	v_mov_b32_e32 v10, s1
	s_waitcnt vmcnt(0)
	global_atomic_cmpswap_x2 v[6:7], v8, v[9:12], s[2:3] offset:24 glc
	s_mov_b64 s[4:5], 0
	s_waitcnt vmcnt(0)
	v_cmp_ne_u64_e32 vcc, v[6:7], v[11:12]
	s_and_b64 exec, exec, vcc
	s_cbranch_execz .LBB9_412
.LBB9_411:                              ; =>This Inner Loop Header: Depth=1
	s_sleep 1
	global_store_dwordx2 v[0:1], v[6:7], off
	v_mov_b32_e32 v4, s0
	v_mov_b32_e32 v5, s1
	s_waitcnt vmcnt(0)
	global_atomic_cmpswap_x2 v[4:5], v8, v[4:7], s[2:3] offset:24 glc
	s_waitcnt vmcnt(0)
	v_cmp_eq_u64_e32 vcc, v[4:5], v[6:7]
	v_mov_b32_e32 v7, v5
	s_or_b64 s[4:5], vcc, s[4:5]
	v_mov_b32_e32 v6, v4
	s_andn2_b64 exec, exec, s[4:5]
	s_cbranch_execnz .LBB9_411
.LBB9_412:
	s_or_b64 exec, exec, s[6:7]
.LBB9_413:
	v_readfirstlane_b32 s0, v32
	s_waitcnt vmcnt(0)
	v_mov_b32_e32 v0, 0
	v_mov_b32_e32 v1, 0
	v_cmp_eq_u32_e64 s[0:1], s0, v32
	s_and_saveexec_b64 s[4:5], s[0:1]
	s_cbranch_execz .LBB9_419
; %bb.414:
	v_mov_b32_e32 v4, 0
	global_load_dwordx2 v[7:8], v4, s[2:3] offset:24 glc
	s_waitcnt vmcnt(0)
	buffer_wbinvl1_vol
	global_load_dwordx2 v[0:1], v4, s[2:3] offset:40
	global_load_dwordx2 v[5:6], v4, s[2:3]
	s_waitcnt vmcnt(1)
	v_and_b32_e32 v0, v0, v7
	v_and_b32_e32 v1, v1, v8
	v_mul_lo_u32 v1, v1, 24
	v_mul_hi_u32 v9, v0, 24
	v_mul_lo_u32 v0, v0, 24
	v_add_u32_e32 v1, v9, v1
	s_waitcnt vmcnt(0)
	v_add_co_u32_e32 v0, vcc, v5, v0
	v_addc_co_u32_e32 v1, vcc, v6, v1, vcc
	global_load_dwordx2 v[5:6], v[0:1], off glc
	s_waitcnt vmcnt(0)
	global_atomic_cmpswap_x2 v[0:1], v4, v[5:8], s[2:3] offset:24 glc
	s_waitcnt vmcnt(0)
	buffer_wbinvl1_vol
	v_cmp_ne_u64_e32 vcc, v[0:1], v[7:8]
	s_and_saveexec_b64 s[6:7], vcc
	s_cbranch_execz .LBB9_418
; %bb.415:
	s_mov_b64 s[8:9], 0
.LBB9_416:                              ; =>This Inner Loop Header: Depth=1
	s_sleep 1
	global_load_dwordx2 v[5:6], v4, s[2:3] offset:40
	global_load_dwordx2 v[9:10], v4, s[2:3]
	v_mov_b32_e32 v8, v1
	v_mov_b32_e32 v7, v0
	s_waitcnt vmcnt(1)
	v_and_b32_e32 v0, v5, v7
	s_waitcnt vmcnt(0)
	v_mad_u64_u32 v[0:1], s[10:11], v0, 24, v[9:10]
	v_and_b32_e32 v5, v6, v8
	v_mad_u64_u32 v[5:6], s[10:11], v5, 24, v[1:2]
	v_mov_b32_e32 v1, v5
	global_load_dwordx2 v[5:6], v[0:1], off glc
	s_waitcnt vmcnt(0)
	global_atomic_cmpswap_x2 v[0:1], v4, v[5:8], s[2:3] offset:24 glc
	s_waitcnt vmcnt(0)
	buffer_wbinvl1_vol
	v_cmp_eq_u64_e32 vcc, v[0:1], v[7:8]
	s_or_b64 s[8:9], vcc, s[8:9]
	s_andn2_b64 exec, exec, s[8:9]
	s_cbranch_execnz .LBB9_416
; %bb.417:
	s_or_b64 exec, exec, s[8:9]
.LBB9_418:
	s_or_b64 exec, exec, s[6:7]
.LBB9_419:
	s_or_b64 exec, exec, s[4:5]
	v_mov_b32_e32 v5, 0
	global_load_dwordx2 v[10:11], v5, s[2:3] offset:40
	global_load_dwordx4 v[6:9], v5, s[2:3]
	v_readfirstlane_b32 s5, v1
	v_readfirstlane_b32 s4, v0
	s_mov_b64 s[6:7], exec
	s_waitcnt vmcnt(1)
	v_readfirstlane_b32 s8, v10
	v_readfirstlane_b32 s9, v11
	s_and_b64 s[8:9], s[8:9], s[4:5]
	s_mul_i32 s10, s9, 24
	s_mul_hi_u32 s11, s8, 24
	s_mul_i32 s12, s8, 24
	s_add_i32 s10, s11, s10
	v_mov_b32_e32 v0, s10
	s_waitcnt vmcnt(0)
	v_add_co_u32_e32 v10, vcc, s12, v6
	v_addc_co_u32_e32 v11, vcc, v7, v0, vcc
	s_and_saveexec_b64 s[10:11], s[0:1]
	s_cbranch_execz .LBB9_421
; %bb.420:
	v_mov_b32_e32 v13, s7
	v_mov_b32_e32 v12, s6
	;; [unrolled: 1-line block ×4, first 2 shown]
	global_store_dwordx4 v[10:11], v[12:15], off offset:8
.LBB9_421:
	s_or_b64 exec, exec, s[10:11]
	s_lshl_b64 s[6:7], s[8:9], 12
	v_mov_b32_e32 v0, s7
	v_add_co_u32_e32 v1, vcc, s6, v8
	v_addc_co_u32_e32 v0, vcc, v9, v0, vcc
	s_movk_i32 s6, 0xff1d
	v_and_or_b32 v2, v2, s6, 34
	s_mov_b32 s8, 0
	v_mov_b32_e32 v4, 0x48
	v_readfirstlane_b32 s6, v1
	v_readfirstlane_b32 s7, v0
	s_mov_b32 s9, s8
	s_mov_b32 s10, s8
	;; [unrolled: 1-line block ×3, first 2 shown]
	s_nop 1
	global_store_dwordx4 v31, v[2:5], s[6:7]
	v_mov_b32_e32 v0, s8
	v_mov_b32_e32 v1, s9
	v_mov_b32_e32 v2, s10
	v_mov_b32_e32 v3, s11
	global_store_dwordx4 v31, v[0:3], s[6:7] offset:16
	global_store_dwordx4 v31, v[0:3], s[6:7] offset:32
	;; [unrolled: 1-line block ×3, first 2 shown]
	s_and_saveexec_b64 s[6:7], s[0:1]
	s_cbranch_execz .LBB9_429
; %bb.422:
	v_mov_b32_e32 v8, 0
	global_load_dwordx2 v[14:15], v8, s[2:3] offset:32 glc
	global_load_dwordx2 v[0:1], v8, s[2:3] offset:40
	v_mov_b32_e32 v12, s4
	v_mov_b32_e32 v13, s5
	s_waitcnt vmcnt(0)
	v_readfirstlane_b32 s8, v0
	v_readfirstlane_b32 s9, v1
	s_and_b64 s[8:9], s[8:9], s[4:5]
	s_mul_i32 s9, s9, 24
	s_mul_hi_u32 s10, s8, 24
	s_mul_i32 s8, s8, 24
	s_add_i32 s9, s10, s9
	v_mov_b32_e32 v0, s9
	v_add_co_u32_e32 v4, vcc, s8, v6
	v_addc_co_u32_e32 v5, vcc, v7, v0, vcc
	global_store_dwordx2 v[4:5], v[14:15], off
	s_waitcnt vmcnt(0)
	global_atomic_cmpswap_x2 v[2:3], v8, v[12:15], s[2:3] offset:32 glc
	s_waitcnt vmcnt(0)
	v_cmp_ne_u64_e32 vcc, v[2:3], v[14:15]
	s_and_saveexec_b64 s[8:9], vcc
	s_cbranch_execz .LBB9_425
; %bb.423:
	s_mov_b64 s[10:11], 0
.LBB9_424:                              ; =>This Inner Loop Header: Depth=1
	s_sleep 1
	global_store_dwordx2 v[4:5], v[2:3], off
	v_mov_b32_e32 v0, s4
	v_mov_b32_e32 v1, s5
	s_waitcnt vmcnt(0)
	global_atomic_cmpswap_x2 v[0:1], v8, v[0:3], s[2:3] offset:32 glc
	s_waitcnt vmcnt(0)
	v_cmp_eq_u64_e32 vcc, v[0:1], v[2:3]
	v_mov_b32_e32 v3, v1
	s_or_b64 s[10:11], vcc, s[10:11]
	v_mov_b32_e32 v2, v0
	s_andn2_b64 exec, exec, s[10:11]
	s_cbranch_execnz .LBB9_424
.LBB9_425:
	s_or_b64 exec, exec, s[8:9]
	v_mov_b32_e32 v3, 0
	global_load_dwordx2 v[0:1], v3, s[2:3] offset:16
	s_mov_b64 s[8:9], exec
	v_mbcnt_lo_u32_b32 v2, s8, 0
	v_mbcnt_hi_u32_b32 v2, s9, v2
	v_cmp_eq_u32_e32 vcc, 0, v2
	s_and_saveexec_b64 s[10:11], vcc
	s_cbranch_execz .LBB9_427
; %bb.426:
	s_bcnt1_i32_b64 s8, s[8:9]
	v_mov_b32_e32 v2, s8
	s_waitcnt vmcnt(0)
	global_atomic_add_x2 v[0:1], v[2:3], off offset:8
.LBB9_427:
	s_or_b64 exec, exec, s[10:11]
	s_waitcnt vmcnt(0)
	global_load_dwordx2 v[2:3], v[0:1], off offset:16
	s_waitcnt vmcnt(0)
	v_cmp_eq_u64_e32 vcc, 0, v[2:3]
	s_cbranch_vccnz .LBB9_429
; %bb.428:
	global_load_dword v0, v[0:1], off offset:24
	v_mov_b32_e32 v1, 0
	s_waitcnt vmcnt(0)
	v_readfirstlane_b32 s8, v0
	s_and_b32 m0, s8, 0xffffff
	global_store_dwordx2 v[2:3], v[0:1], off
	s_sendmsg sendmsg(MSG_INTERRUPT)
.LBB9_429:
	s_or_b64 exec, exec, s[6:7]
	s_branch .LBB9_433
.LBB9_430:                              ;   in Loop: Header=BB9_433 Depth=1
	s_or_b64 exec, exec, s[6:7]
	v_readfirstlane_b32 s6, v0
	s_cmp_eq_u32 s6, 0
	s_cbranch_scc1 .LBB9_432
; %bb.431:                              ;   in Loop: Header=BB9_433 Depth=1
	s_sleep 1
	s_cbranch_execnz .LBB9_433
	s_branch .LBB9_435
.LBB9_432:
	s_branch .LBB9_435
.LBB9_433:                              ; =>This Inner Loop Header: Depth=1
	v_mov_b32_e32 v0, 1
	s_and_saveexec_b64 s[6:7], s[0:1]
	s_cbranch_execz .LBB9_430
; %bb.434:                              ;   in Loop: Header=BB9_433 Depth=1
	global_load_dword v0, v[10:11], off offset:20 glc
	s_waitcnt vmcnt(0)
	buffer_wbinvl1_vol
	v_and_b32_e32 v0, 1, v0
	s_branch .LBB9_430
.LBB9_435:
	s_and_saveexec_b64 s[6:7], s[0:1]
	s_cbranch_execz .LBB9_438
; %bb.436:
	v_mov_b32_e32 v6, 0
	global_load_dwordx2 v[0:1], v6, s[2:3] offset:40
	global_load_dwordx2 v[9:10], v6, s[2:3] offset:24 glc
	global_load_dwordx2 v[2:3], v6, s[2:3]
	s_waitcnt vmcnt(2)
	v_readfirstlane_b32 s8, v0
	v_readfirstlane_b32 s9, v1
	s_add_u32 s10, s8, 1
	s_addc_u32 s11, s9, 0
	s_add_u32 s0, s10, s4
	s_addc_u32 s1, s11, s5
	s_cmp_eq_u64 s[0:1], 0
	s_cselect_b32 s1, s11, s1
	s_cselect_b32 s0, s10, s0
	s_and_b64 s[4:5], s[0:1], s[8:9]
	s_mul_i32 s5, s5, 24
	s_mul_hi_u32 s8, s4, 24
	s_mul_i32 s4, s4, 24
	s_add_i32 s5, s8, s5
	v_mov_b32_e32 v0, s5
	s_waitcnt vmcnt(0)
	v_add_co_u32_e32 v4, vcc, s4, v2
	v_addc_co_u32_e32 v5, vcc, v3, v0, vcc
	v_mov_b32_e32 v7, s0
	global_store_dwordx2 v[4:5], v[9:10], off
	v_mov_b32_e32 v8, s1
	s_waitcnt vmcnt(0)
	global_atomic_cmpswap_x2 v[2:3], v6, v[7:10], s[2:3] offset:24 glc
	s_mov_b64 s[4:5], 0
	s_waitcnt vmcnt(0)
	v_cmp_ne_u64_e32 vcc, v[2:3], v[9:10]
	s_and_b64 exec, exec, vcc
	s_cbranch_execz .LBB9_438
.LBB9_437:                              ; =>This Inner Loop Header: Depth=1
	s_sleep 1
	global_store_dwordx2 v[4:5], v[2:3], off
	v_mov_b32_e32 v0, s0
	v_mov_b32_e32 v1, s1
	s_waitcnt vmcnt(0)
	global_atomic_cmpswap_x2 v[0:1], v6, v[0:3], s[2:3] offset:24 glc
	s_waitcnt vmcnt(0)
	v_cmp_eq_u64_e32 vcc, v[0:1], v[2:3]
	v_mov_b32_e32 v3, v1
	s_or_b64 s[4:5], vcc, s[4:5]
	v_mov_b32_e32 v2, v0
	s_andn2_b64 exec, exec, s[4:5]
	s_cbranch_execnz .LBB9_437
.LBB9_438:
	s_or_b64 exec, exec, s[6:7]
	s_trap 2
	; divergent unreachable
	s_endpgm
	.section	.rodata,"a",@progbits
	.p2align	6, 0x0
	.amdhsa_kernel _ZN9rocsparseL39csr2csr_compress_fill_warp_start_deviceILj256ELj32ELj2E21rocsparse_complex_numIfEEEviPKT2_PjS3_
		.amdhsa_group_segment_fixed_size 0
		.amdhsa_private_segment_fixed_size 0
		.amdhsa_kernarg_size 288
		.amdhsa_user_sgpr_count 6
		.amdhsa_user_sgpr_private_segment_buffer 1
		.amdhsa_user_sgpr_dispatch_ptr 0
		.amdhsa_user_sgpr_queue_ptr 0
		.amdhsa_user_sgpr_kernarg_segment_ptr 1
		.amdhsa_user_sgpr_dispatch_id 0
		.amdhsa_user_sgpr_flat_scratch_init 0
		.amdhsa_user_sgpr_private_segment_size 0
		.amdhsa_uses_dynamic_stack 0
		.amdhsa_system_sgpr_private_segment_wavefront_offset 0
		.amdhsa_system_sgpr_workgroup_id_x 1
		.amdhsa_system_sgpr_workgroup_id_y 0
		.amdhsa_system_sgpr_workgroup_id_z 0
		.amdhsa_system_sgpr_workgroup_info 0
		.amdhsa_system_vgpr_workitem_id 0
		.amdhsa_next_free_vgpr 34
		.amdhsa_next_free_sgpr 20
		.amdhsa_reserve_vcc 1
		.amdhsa_reserve_flat_scratch 0
		.amdhsa_float_round_mode_32 0
		.amdhsa_float_round_mode_16_64 0
		.amdhsa_float_denorm_mode_32 3
		.amdhsa_float_denorm_mode_16_64 3
		.amdhsa_dx10_clamp 1
		.amdhsa_ieee_mode 1
		.amdhsa_fp16_overflow 0
		.amdhsa_exception_fp_ieee_invalid_op 0
		.amdhsa_exception_fp_denorm_src 0
		.amdhsa_exception_fp_ieee_div_zero 0
		.amdhsa_exception_fp_ieee_overflow 0
		.amdhsa_exception_fp_ieee_underflow 0
		.amdhsa_exception_fp_ieee_inexact 0
		.amdhsa_exception_int_div_zero 0
	.end_amdhsa_kernel
	.section	.text._ZN9rocsparseL39csr2csr_compress_fill_warp_start_deviceILj256ELj32ELj2E21rocsparse_complex_numIfEEEviPKT2_PjS3_,"axG",@progbits,_ZN9rocsparseL39csr2csr_compress_fill_warp_start_deviceILj256ELj32ELj2E21rocsparse_complex_numIfEEEviPKT2_PjS3_,comdat
.Lfunc_end9:
	.size	_ZN9rocsparseL39csr2csr_compress_fill_warp_start_deviceILj256ELj32ELj2E21rocsparse_complex_numIfEEEviPKT2_PjS3_, .Lfunc_end9-_ZN9rocsparseL39csr2csr_compress_fill_warp_start_deviceILj256ELj32ELj2E21rocsparse_complex_numIfEEEviPKT2_PjS3_
                                        ; -- End function
	.set _ZN9rocsparseL39csr2csr_compress_fill_warp_start_deviceILj256ELj32ELj2E21rocsparse_complex_numIfEEEviPKT2_PjS3_.num_vgpr, 34
	.set _ZN9rocsparseL39csr2csr_compress_fill_warp_start_deviceILj256ELj32ELj2E21rocsparse_complex_numIfEEEviPKT2_PjS3_.num_agpr, 0
	.set _ZN9rocsparseL39csr2csr_compress_fill_warp_start_deviceILj256ELj32ELj2E21rocsparse_complex_numIfEEEviPKT2_PjS3_.numbered_sgpr, 20
	.set _ZN9rocsparseL39csr2csr_compress_fill_warp_start_deviceILj256ELj32ELj2E21rocsparse_complex_numIfEEEviPKT2_PjS3_.num_named_barrier, 0
	.set _ZN9rocsparseL39csr2csr_compress_fill_warp_start_deviceILj256ELj32ELj2E21rocsparse_complex_numIfEEEviPKT2_PjS3_.private_seg_size, 0
	.set _ZN9rocsparseL39csr2csr_compress_fill_warp_start_deviceILj256ELj32ELj2E21rocsparse_complex_numIfEEEviPKT2_PjS3_.uses_vcc, 1
	.set _ZN9rocsparseL39csr2csr_compress_fill_warp_start_deviceILj256ELj32ELj2E21rocsparse_complex_numIfEEEviPKT2_PjS3_.uses_flat_scratch, 0
	.set _ZN9rocsparseL39csr2csr_compress_fill_warp_start_deviceILj256ELj32ELj2E21rocsparse_complex_numIfEEEviPKT2_PjS3_.has_dyn_sized_stack, 0
	.set _ZN9rocsparseL39csr2csr_compress_fill_warp_start_deviceILj256ELj32ELj2E21rocsparse_complex_numIfEEEviPKT2_PjS3_.has_recursion, 0
	.set _ZN9rocsparseL39csr2csr_compress_fill_warp_start_deviceILj256ELj32ELj2E21rocsparse_complex_numIfEEEviPKT2_PjS3_.has_indirect_call, 0
	.section	.AMDGPU.csdata,"",@progbits
; Kernel info:
; codeLenInByte = 15176
; TotalNumSgprs: 24
; NumVgprs: 34
; ScratchSize: 0
; MemoryBound: 0
; FloatMode: 240
; IeeeMode: 1
; LDSByteSize: 0 bytes/workgroup (compile time only)
; SGPRBlocks: 2
; VGPRBlocks: 8
; NumSGPRsForWavesPerEU: 24
; NumVGPRsForWavesPerEU: 34
; Occupancy: 7
; WaveLimiterHint : 1
; COMPUTE_PGM_RSRC2:SCRATCH_EN: 0
; COMPUTE_PGM_RSRC2:USER_SGPR: 6
; COMPUTE_PGM_RSRC2:TRAP_HANDLER: 0
; COMPUTE_PGM_RSRC2:TGID_X_EN: 1
; COMPUTE_PGM_RSRC2:TGID_Y_EN: 0
; COMPUTE_PGM_RSRC2:TGID_Z_EN: 0
; COMPUTE_PGM_RSRC2:TIDIG_COMP_CNT: 0
	.section	.text._ZN9rocsparseL39csr2csr_compress_fill_warp_start_deviceILj256ELj64ELj2E21rocsparse_complex_numIfEEEviPKT2_PjS3_,"axG",@progbits,_ZN9rocsparseL39csr2csr_compress_fill_warp_start_deviceILj256ELj64ELj2E21rocsparse_complex_numIfEEEviPKT2_PjS3_,comdat
	.globl	_ZN9rocsparseL39csr2csr_compress_fill_warp_start_deviceILj256ELj64ELj2E21rocsparse_complex_numIfEEEviPKT2_PjS3_ ; -- Begin function _ZN9rocsparseL39csr2csr_compress_fill_warp_start_deviceILj256ELj64ELj2E21rocsparse_complex_numIfEEEviPKT2_PjS3_
	.p2align	8
	.type	_ZN9rocsparseL39csr2csr_compress_fill_warp_start_deviceILj256ELj64ELj2E21rocsparse_complex_numIfEEEviPKT2_PjS3_,@function
_ZN9rocsparseL39csr2csr_compress_fill_warp_start_deviceILj256ELj64ELj2E21rocsparse_complex_numIfEEEviPKT2_PjS3_: ; @_ZN9rocsparseL39csr2csr_compress_fill_warp_start_deviceILj256ELj64ELj2E21rocsparse_complex_numIfEEEviPKT2_PjS3_
; %bb.0:
	s_load_dwordx4 s[8:11], s[4:5], 0x8
	v_lshl_or_b32 v2, s6, 9, v0
	v_cmp_eq_u32_e32 vcc, 0, v2
	s_and_saveexec_b64 s[0:1], vcc
	s_cbranch_execz .LBB10_2
; %bb.1:
	v_mov_b32_e32 v1, 0
	s_waitcnt lgkmcnt(0)
	global_store_dword v1, v1, s[10:11]
.LBB10_2:
	s_or_b64 exec, exec, s[0:1]
	s_load_dword s16, s[4:5], 0x0
	s_load_dword s19, s[4:5], 0x18
	v_lshrrev_b32_e32 v0, 6, v0
	v_lshl_or_b32 v0, s6, 3, v0
	s_mov_b64 s[6:7], 0
	s_waitcnt lgkmcnt(0)
	s_add_i32 s0, s16, -1
	v_cmp_gt_i32_e32 vcc, s16, v2
	s_lshr_b32 s18, s0, 6
	s_mov_b64 s[0:1], -1
	s_and_saveexec_b64 s[12:13], vcc
	s_cbranch_execnz .LBB10_6
; %bb.3:
	s_or_b64 exec, exec, s[12:13]
	s_and_saveexec_b64 s[12:13], s[0:1]
	s_cbranch_execnz .LBB10_23
.LBB10_4:
	s_or_b64 exec, exec, s[12:13]
	s_and_saveexec_b64 s[0:1], s[6:7]
	s_xor_b64 s[0:1], exec, s[0:1]
	s_cbranch_execnz .LBB10_42
.LBB10_5:
	s_endpgm
.LBB10_6:
	v_ashrrev_i32_e32 v3, 31, v2
	v_lshlrev_b64 v[3:4], 3, v[2:3]
	v_mov_b32_e32 v1, s9
	v_add_co_u32_e32 v3, vcc, s8, v3
	v_addc_co_u32_e32 v4, vcc, v1, v4, vcc
	global_load_dwordx2 v[3:4], v[3:4], off glc slc
                                        ; implicit-def: $vgpr5
	s_waitcnt vmcnt(0)
	v_cmp_gt_f32_e32 vcc, 0, v3
	v_cndmask_b32_e64 v1, v3, -v3, vcc
	v_cmp_gt_f32_e32 vcc, 0, v4
	v_cndmask_b32_e64 v3, v4, -v4, vcc
	v_cmp_ngt_f32_e64 s[0:1], v1, v3
	s_and_saveexec_b64 s[2:3], s[0:1]
	s_xor_b64 s[6:7], exec, s[2:3]
	s_cbranch_execz .LBB10_10
; %bb.7:
	v_mov_b32_e32 v5, 0
	v_cmp_neq_f32_e32 vcc, 0, v4
	s_and_saveexec_b64 s[14:15], vcc
	s_cbranch_execz .LBB10_9
; %bb.8:
	v_div_scale_f32 v5, s[2:3], v3, v3, v1
	v_div_scale_f32 v6, vcc, v1, v3, v1
	s_mov_b32 s2, 0xf800000
	v_rcp_f32_e32 v7, v5
	v_fma_f32 v8, -v5, v7, 1.0
	v_fmac_f32_e32 v7, v8, v7
	v_mul_f32_e32 v8, v6, v7
	v_fma_f32 v9, -v5, v8, v6
	v_fmac_f32_e32 v8, v9, v7
	v_fma_f32 v5, -v5, v8, v6
	v_div_fmas_f32 v5, v5, v7, v8
	v_mov_b32_e32 v7, 0x260
	v_div_fixup_f32 v5, v5, v3, v1
	v_fma_f32 v5, v5, v5, 1.0
	v_mul_f32_e32 v6, 0x4f800000, v5
	v_cmp_gt_f32_e32 vcc, s2, v5
	v_cndmask_b32_e32 v5, v5, v6, vcc
	v_sqrt_f32_e32 v6, v5
	v_add_u32_e32 v8, -1, v6
	v_add_u32_e32 v9, 1, v6
	v_fma_f32 v10, -v8, v6, v5
	v_fma_f32 v11, -v9, v6, v5
	v_cmp_ge_f32_e64 s[2:3], 0, v10
	v_cndmask_b32_e64 v6, v6, v8, s[2:3]
	v_cmp_lt_f32_e64 s[2:3], 0, v11
	v_cndmask_b32_e64 v6, v6, v9, s[2:3]
	v_mul_f32_e32 v8, 0x37800000, v6
	v_cndmask_b32_e32 v6, v6, v8, vcc
	v_cmp_class_f32_e32 vcc, v5, v7
	v_cndmask_b32_e32 v5, v6, v5, vcc
	v_mul_f32_e32 v5, v3, v5
.LBB10_9:
	s_or_b64 exec, exec, s[14:15]
.LBB10_10:
	s_andn2_saveexec_b64 s[6:7], s[6:7]
	s_cbranch_execz .LBB10_12
; %bb.11:
	v_div_scale_f32 v5, s[2:3], v1, v1, v3
	v_div_scale_f32 v6, vcc, v3, v1, v3
	s_mov_b32 s2, 0xf800000
	v_rcp_f32_e32 v7, v5
	v_fma_f32 v8, -v5, v7, 1.0
	v_fmac_f32_e32 v7, v8, v7
	v_mul_f32_e32 v8, v6, v7
	v_fma_f32 v9, -v5, v8, v6
	v_fmac_f32_e32 v8, v9, v7
	v_fma_f32 v5, -v5, v8, v6
	v_div_fmas_f32 v5, v5, v7, v8
	v_mov_b32_e32 v7, 0x260
	v_div_fixup_f32 v5, v5, v1, v3
	v_fma_f32 v5, v5, v5, 1.0
	v_mul_f32_e32 v6, 0x4f800000, v5
	v_cmp_gt_f32_e32 vcc, s2, v5
	v_cndmask_b32_e32 v5, v5, v6, vcc
	v_sqrt_f32_e32 v6, v5
	v_add_u32_e32 v8, -1, v6
	v_add_u32_e32 v9, 1, v6
	v_fma_f32 v10, -v8, v6, v5
	v_fma_f32 v11, -v9, v6, v5
	v_cmp_ge_f32_e64 s[2:3], 0, v10
	v_cndmask_b32_e64 v6, v6, v8, s[2:3]
	v_cmp_lt_f32_e64 s[2:3], 0, v11
	v_cndmask_b32_e64 v6, v6, v9, s[2:3]
	v_mul_f32_e32 v8, 0x37800000, v6
	v_cndmask_b32_e32 v6, v6, v8, vcc
	v_cmp_class_f32_e32 vcc, v5, v7
	v_cndmask_b32_e32 v5, v6, v5, vcc
	v_mul_f32_e32 v5, v1, v5
.LBB10_12:
	s_or_b64 exec, exec, s[6:7]
	v_cmp_lt_f32_e32 vcc, s19, v5
	s_mov_b64 s[6:7], 0
	s_and_saveexec_b64 s[2:3], vcc
	s_cbranch_execz .LBB10_20
; %bb.13:
                                        ; implicit-def: $vgpr5
	s_and_saveexec_b64 s[6:7], s[0:1]
	s_xor_b64 s[6:7], exec, s[6:7]
	s_cbranch_execz .LBB10_17
; %bb.14:
	v_mov_b32_e32 v5, 0
	v_cmp_neq_f32_e32 vcc, 0, v4
	s_and_saveexec_b64 s[14:15], vcc
	s_cbranch_execz .LBB10_16
; %bb.15:
	v_div_scale_f32 v4, s[0:1], v3, v3, v1
	v_div_scale_f32 v5, vcc, v1, v3, v1
	s_mov_b32 s0, 0xf800000
	v_rcp_f32_e32 v6, v4
	v_fma_f32 v7, -v4, v6, 1.0
	v_fmac_f32_e32 v6, v7, v6
	v_mul_f32_e32 v7, v5, v6
	v_fma_f32 v8, -v4, v7, v5
	v_fmac_f32_e32 v7, v8, v6
	v_fma_f32 v4, -v4, v7, v5
	v_div_fmas_f32 v4, v4, v6, v7
	v_mov_b32_e32 v5, 0x260
	v_div_fixup_f32 v1, v4, v3, v1
	v_fma_f32 v1, v1, v1, 1.0
	v_mul_f32_e32 v4, 0x4f800000, v1
	v_cmp_gt_f32_e32 vcc, s0, v1
	v_cndmask_b32_e32 v1, v1, v4, vcc
	v_sqrt_f32_e32 v4, v1
	v_add_u32_e32 v6, -1, v4
	v_add_u32_e32 v7, 1, v4
	v_fma_f32 v8, -v6, v4, v1
	v_fma_f32 v9, -v7, v4, v1
	v_cmp_ge_f32_e64 s[0:1], 0, v8
	v_cndmask_b32_e64 v4, v4, v6, s[0:1]
	v_cmp_lt_f32_e64 s[0:1], 0, v9
	v_cndmask_b32_e64 v4, v4, v7, s[0:1]
	v_mul_f32_e32 v6, 0x37800000, v4
	v_cndmask_b32_e32 v4, v4, v6, vcc
	v_cmp_class_f32_e32 vcc, v1, v5
	v_cndmask_b32_e32 v1, v4, v1, vcc
	v_mul_f32_e32 v5, v3, v1
.LBB10_16:
	s_or_b64 exec, exec, s[14:15]
                                        ; implicit-def: $vgpr1
                                        ; implicit-def: $vgpr3
.LBB10_17:
	s_andn2_saveexec_b64 s[6:7], s[6:7]
	s_cbranch_execz .LBB10_19
; %bb.18:
	v_div_scale_f32 v4, s[0:1], v1, v1, v3
	v_div_scale_f32 v5, vcc, v3, v1, v3
	s_mov_b32 s0, 0xf800000
	v_rcp_f32_e32 v6, v4
	v_fma_f32 v7, -v4, v6, 1.0
	v_fmac_f32_e32 v6, v7, v6
	v_mul_f32_e32 v7, v5, v6
	v_fma_f32 v8, -v4, v7, v5
	v_fmac_f32_e32 v7, v8, v6
	v_fma_f32 v4, -v4, v7, v5
	v_div_fmas_f32 v4, v4, v6, v7
	v_mov_b32_e32 v5, 0x260
	v_div_fixup_f32 v3, v4, v1, v3
	v_fma_f32 v3, v3, v3, 1.0
	v_mul_f32_e32 v4, 0x4f800000, v3
	v_cmp_gt_f32_e32 vcc, s0, v3
	v_cndmask_b32_e32 v3, v3, v4, vcc
	v_sqrt_f32_e32 v4, v3
	v_add_u32_e32 v6, -1, v4
	v_add_u32_e32 v7, 1, v4
	v_fma_f32 v8, -v6, v4, v3
	v_fma_f32 v9, -v7, v4, v3
	v_cmp_ge_f32_e64 s[0:1], 0, v8
	v_cndmask_b32_e64 v4, v4, v6, s[0:1]
	v_cmp_lt_f32_e64 s[0:1], 0, v9
	v_cndmask_b32_e64 v4, v4, v7, s[0:1]
	v_mul_f32_e32 v6, 0x37800000, v4
	v_cndmask_b32_e32 v4, v4, v6, vcc
	v_cmp_class_f32_e32 vcc, v3, v5
	v_cndmask_b32_e32 v3, v4, v3, vcc
	v_mul_f32_e32 v5, v1, v3
.LBB10_19:
	s_or_b64 exec, exec, s[6:7]
	s_mov_b32 s0, 0x800000
	v_cmp_lt_f32_e32 vcc, s0, v5
	s_and_b64 s[6:7], vcc, exec
.LBB10_20:
	s_or_b64 exec, exec, s[2:3]
	v_cndmask_b32_e64 v1, 0, 1, s[6:7]
	v_cmp_ne_u32_e32 vcc, 0, v1
	v_cmp_ge_u32_e64 s[0:1], s18, v0
	s_mov_b64 s[2:3], 0
	s_mov_b64 s[14:15], -1
	s_and_saveexec_b64 s[6:7], s[0:1]
	s_cbranch_execz .LBB10_22
; %bb.21:
	v_mov_b32_e32 v1, 0
	v_lshlrev_b64 v[3:4], 2, v[0:1]
	s_bcnt1_i32_b64 s0, vcc
	v_mov_b32_e32 v1, s11
	v_add_co_u32_e32 v3, vcc, s10, v3
	s_mov_b64 s[2:3], exec
	v_addc_co_u32_e32 v4, vcc, v1, v4, vcc
	v_mov_b32_e32 v1, s0
	s_xor_b64 s[14:15], exec, -1
	global_store_dword v[3:4], v1, off offset:4
.LBB10_22:
	s_or_b64 exec, exec, s[6:7]
	s_and_b64 s[6:7], s[14:15], exec
	s_orn2_b64 s[0:1], s[2:3], exec
	s_or_b64 exec, exec, s[12:13]
	s_and_saveexec_b64 s[12:13], s[0:1]
	s_cbranch_execz .LBB10_4
.LBB10_23:
	v_add_u32_e32 v1, 0x100, v2
	v_cmp_gt_i32_e32 vcc, s16, v1
	s_mov_b64 s[0:1], s[6:7]
	s_and_saveexec_b64 s[14:15], vcc
	s_cbranch_execz .LBB10_41
; %bb.24:
	v_ashrrev_i32_e32 v3, 31, v2
	v_lshlrev_b64 v[1:2], 3, v[2:3]
	v_mov_b32_e32 v3, s9
	v_add_co_u32_e32 v1, vcc, s8, v1
	v_addc_co_u32_e32 v2, vcc, v3, v2, vcc
	global_load_dwordx2 v[1:2], v[1:2], off offset:2048 glc slc
                                        ; implicit-def: $vgpr4
	s_waitcnt vmcnt(0)
	v_cmp_gt_f32_e32 vcc, 0, v1
	v_cndmask_b32_e64 v1, v1, -v1, vcc
	v_cmp_gt_f32_e32 vcc, 0, v2
	v_cndmask_b32_e64 v3, v2, -v2, vcc
	v_cmp_ngt_f32_e64 s[0:1], v1, v3
	s_and_saveexec_b64 s[2:3], s[0:1]
	s_xor_b64 s[8:9], exec, s[2:3]
	s_cbranch_execz .LBB10_28
; %bb.25:
	v_mov_b32_e32 v4, 0
	v_cmp_neq_f32_e32 vcc, 0, v2
	s_and_saveexec_b64 s[16:17], vcc
	s_cbranch_execz .LBB10_27
; %bb.26:
	v_div_scale_f32 v4, s[2:3], v3, v3, v1
	v_div_scale_f32 v5, vcc, v1, v3, v1
	s_mov_b32 s2, 0xf800000
	v_rcp_f32_e32 v6, v4
	v_fma_f32 v7, -v4, v6, 1.0
	v_fmac_f32_e32 v6, v7, v6
	v_mul_f32_e32 v7, v5, v6
	v_fma_f32 v8, -v4, v7, v5
	v_fmac_f32_e32 v7, v8, v6
	v_fma_f32 v4, -v4, v7, v5
	v_div_fmas_f32 v4, v4, v6, v7
	v_mov_b32_e32 v6, 0x260
	v_div_fixup_f32 v4, v4, v3, v1
	v_fma_f32 v4, v4, v4, 1.0
	v_mul_f32_e32 v5, 0x4f800000, v4
	v_cmp_gt_f32_e32 vcc, s2, v4
	v_cndmask_b32_e32 v4, v4, v5, vcc
	v_sqrt_f32_e32 v5, v4
	v_add_u32_e32 v7, -1, v5
	v_add_u32_e32 v8, 1, v5
	v_fma_f32 v9, -v7, v5, v4
	v_fma_f32 v10, -v8, v5, v4
	v_cmp_ge_f32_e64 s[2:3], 0, v9
	v_cndmask_b32_e64 v5, v5, v7, s[2:3]
	v_cmp_lt_f32_e64 s[2:3], 0, v10
	v_cndmask_b32_e64 v5, v5, v8, s[2:3]
	v_mul_f32_e32 v7, 0x37800000, v5
	v_cndmask_b32_e32 v5, v5, v7, vcc
	v_cmp_class_f32_e32 vcc, v4, v6
	v_cndmask_b32_e32 v4, v5, v4, vcc
	v_mul_f32_e32 v4, v3, v4
.LBB10_27:
	s_or_b64 exec, exec, s[16:17]
.LBB10_28:
	s_andn2_saveexec_b64 s[8:9], s[8:9]
	s_cbranch_execz .LBB10_30
; %bb.29:
	v_div_scale_f32 v4, s[2:3], v1, v1, v3
	v_div_scale_f32 v5, vcc, v3, v1, v3
	s_mov_b32 s2, 0xf800000
	v_rcp_f32_e32 v6, v4
	v_fma_f32 v7, -v4, v6, 1.0
	v_fmac_f32_e32 v6, v7, v6
	v_mul_f32_e32 v7, v5, v6
	v_fma_f32 v8, -v4, v7, v5
	v_fmac_f32_e32 v7, v8, v6
	v_fma_f32 v4, -v4, v7, v5
	v_div_fmas_f32 v4, v4, v6, v7
	v_mov_b32_e32 v6, 0x260
	v_div_fixup_f32 v4, v4, v1, v3
	v_fma_f32 v4, v4, v4, 1.0
	v_mul_f32_e32 v5, 0x4f800000, v4
	v_cmp_gt_f32_e32 vcc, s2, v4
	v_cndmask_b32_e32 v4, v4, v5, vcc
	v_sqrt_f32_e32 v5, v4
	v_add_u32_e32 v7, -1, v5
	v_add_u32_e32 v8, 1, v5
	v_fma_f32 v9, -v7, v5, v4
	v_fma_f32 v10, -v8, v5, v4
	v_cmp_ge_f32_e64 s[2:3], 0, v9
	v_cndmask_b32_e64 v5, v5, v7, s[2:3]
	v_cmp_lt_f32_e64 s[2:3], 0, v10
	v_cndmask_b32_e64 v5, v5, v8, s[2:3]
	v_mul_f32_e32 v7, 0x37800000, v5
	v_cndmask_b32_e32 v5, v5, v7, vcc
	v_cmp_class_f32_e32 vcc, v4, v6
	v_cndmask_b32_e32 v4, v5, v4, vcc
	v_mul_f32_e32 v4, v1, v4
.LBB10_30:
	s_or_b64 exec, exec, s[8:9]
	v_cmp_lt_f32_e32 vcc, s19, v4
	s_mov_b64 s[8:9], 0
	s_and_saveexec_b64 s[2:3], vcc
	s_cbranch_execz .LBB10_38
; %bb.31:
                                        ; implicit-def: $vgpr4
	s_and_saveexec_b64 s[8:9], s[0:1]
	s_xor_b64 s[8:9], exec, s[8:9]
	s_cbranch_execz .LBB10_35
; %bb.32:
	v_mov_b32_e32 v4, 0
	v_cmp_neq_f32_e32 vcc, 0, v2
	s_and_saveexec_b64 s[16:17], vcc
	s_cbranch_execz .LBB10_34
; %bb.33:
	v_div_scale_f32 v2, s[0:1], v3, v3, v1
	v_div_scale_f32 v4, vcc, v1, v3, v1
	s_mov_b32 s0, 0xf800000
	v_rcp_f32_e32 v5, v2
	v_fma_f32 v6, -v2, v5, 1.0
	v_fmac_f32_e32 v5, v6, v5
	v_mul_f32_e32 v6, v4, v5
	v_fma_f32 v7, -v2, v6, v4
	v_fmac_f32_e32 v6, v7, v5
	v_fma_f32 v2, -v2, v6, v4
	v_div_fmas_f32 v2, v2, v5, v6
	v_mov_b32_e32 v4, 0x260
	v_div_fixup_f32 v1, v2, v3, v1
	v_fma_f32 v1, v1, v1, 1.0
	v_mul_f32_e32 v2, 0x4f800000, v1
	v_cmp_gt_f32_e32 vcc, s0, v1
	v_cndmask_b32_e32 v1, v1, v2, vcc
	v_sqrt_f32_e32 v2, v1
	v_add_u32_e32 v5, -1, v2
	v_add_u32_e32 v6, 1, v2
	v_fma_f32 v7, -v5, v2, v1
	v_fma_f32 v8, -v6, v2, v1
	v_cmp_ge_f32_e64 s[0:1], 0, v7
	v_cndmask_b32_e64 v2, v2, v5, s[0:1]
	v_cmp_lt_f32_e64 s[0:1], 0, v8
	v_cndmask_b32_e64 v2, v2, v6, s[0:1]
	v_mul_f32_e32 v5, 0x37800000, v2
	v_cndmask_b32_e32 v2, v2, v5, vcc
	v_cmp_class_f32_e32 vcc, v1, v4
	v_cndmask_b32_e32 v1, v2, v1, vcc
	v_mul_f32_e32 v4, v3, v1
.LBB10_34:
	s_or_b64 exec, exec, s[16:17]
                                        ; implicit-def: $vgpr1
                                        ; implicit-def: $vgpr3
.LBB10_35:
	s_andn2_saveexec_b64 s[8:9], s[8:9]
	s_cbranch_execz .LBB10_37
; %bb.36:
	v_div_scale_f32 v2, s[0:1], v1, v1, v3
	v_div_scale_f32 v4, vcc, v3, v1, v3
	s_mov_b32 s0, 0xf800000
	v_rcp_f32_e32 v5, v2
	v_fma_f32 v6, -v2, v5, 1.0
	v_fmac_f32_e32 v5, v6, v5
	v_mul_f32_e32 v6, v4, v5
	v_fma_f32 v7, -v2, v6, v4
	v_fmac_f32_e32 v6, v7, v5
	v_fma_f32 v2, -v2, v6, v4
	v_div_fmas_f32 v2, v2, v5, v6
	v_mov_b32_e32 v4, 0x260
	v_div_fixup_f32 v2, v2, v1, v3
	v_fma_f32 v2, v2, v2, 1.0
	v_mul_f32_e32 v3, 0x4f800000, v2
	v_cmp_gt_f32_e32 vcc, s0, v2
	v_cndmask_b32_e32 v2, v2, v3, vcc
	v_sqrt_f32_e32 v3, v2
	v_add_u32_e32 v5, -1, v3
	v_add_u32_e32 v6, 1, v3
	v_fma_f32 v7, -v5, v3, v2
	v_fma_f32 v8, -v6, v3, v2
	v_cmp_ge_f32_e64 s[0:1], 0, v7
	v_cndmask_b32_e64 v3, v3, v5, s[0:1]
	v_cmp_lt_f32_e64 s[0:1], 0, v8
	v_cndmask_b32_e64 v3, v3, v6, s[0:1]
	v_mul_f32_e32 v5, 0x37800000, v3
	v_cndmask_b32_e32 v3, v3, v5, vcc
	v_cmp_class_f32_e32 vcc, v2, v4
	v_cndmask_b32_e32 v2, v3, v2, vcc
	v_mul_f32_e32 v4, v1, v2
.LBB10_37:
	s_or_b64 exec, exec, s[8:9]
	s_mov_b32 s0, 0x800000
	v_cmp_lt_f32_e32 vcc, s0, v4
	s_and_b64 s[8:9], vcc, exec
.LBB10_38:
	s_or_b64 exec, exec, s[2:3]
	v_cndmask_b32_e64 v1, 0, 1, s[8:9]
	v_add_u32_e32 v0, 4, v0
	v_cmp_ne_u32_e32 vcc, 0, v1
	v_cmp_ge_u32_e64 s[0:1], s18, v0
	s_mov_b64 s[2:3], -1
	s_and_saveexec_b64 s[8:9], s[0:1]
	s_xor_b64 s[0:1], exec, s[8:9]
	s_cbranch_execz .LBB10_40
; %bb.39:
	v_mov_b32_e32 v1, 0
	v_lshlrev_b64 v[0:1], 2, v[0:1]
	s_bcnt1_i32_b64 s2, vcc
	v_mov_b32_e32 v2, s11
	v_add_co_u32_e32 v0, vcc, s10, v0
	v_addc_co_u32_e32 v1, vcc, v2, v1, vcc
	v_mov_b32_e32 v2, s2
	s_xor_b64 s[2:3], exec, -1
	global_store_dword v[0:1], v2, off offset:4
.LBB10_40:
	s_or_b64 exec, exec, s[0:1]
	s_andn2_b64 s[0:1], s[6:7], exec
	s_and_b64 s[2:3], s[2:3], exec
	s_or_b64 s[0:1], s[0:1], s[2:3]
.LBB10_41:
	s_or_b64 exec, exec, s[14:15]
	s_andn2_b64 s[2:3], s[6:7], exec
	s_and_b64 s[0:1], s[0:1], exec
	s_or_b64 s[6:7], s[2:3], s[0:1]
	s_or_b64 exec, exec, s[12:13]
	s_and_saveexec_b64 s[0:1], s[6:7]
	s_xor_b64 s[0:1], exec, s[0:1]
	s_cbranch_execz .LBB10_5
.LBB10_42:
	s_load_dwordx2 s[2:3], s[4:5], 0x70
	v_mbcnt_lo_u32_b32 v0, -1, 0
	v_mbcnt_hi_u32_b32 v32, -1, v0
	v_readfirstlane_b32 s0, v32
	v_mov_b32_e32 v5, 0
	v_mov_b32_e32 v6, 0
	v_cmp_eq_u32_e64 s[0:1], s0, v32
	s_and_saveexec_b64 s[4:5], s[0:1]
	s_cbranch_execz .LBB10_48
; %bb.43:
	v_mov_b32_e32 v0, 0
	s_waitcnt lgkmcnt(0)
	global_load_dwordx2 v[3:4], v0, s[2:3] offset:24 glc
	s_waitcnt vmcnt(0)
	buffer_wbinvl1_vol
	global_load_dwordx2 v[1:2], v0, s[2:3] offset:40
	global_load_dwordx2 v[5:6], v0, s[2:3]
	s_waitcnt vmcnt(1)
	v_and_b32_e32 v1, v1, v3
	v_and_b32_e32 v2, v2, v4
	v_mul_lo_u32 v2, v2, 24
	v_mul_hi_u32 v7, v1, 24
	v_mul_lo_u32 v1, v1, 24
	v_add_u32_e32 v2, v7, v2
	s_waitcnt vmcnt(0)
	v_add_co_u32_e32 v1, vcc, v5, v1
	v_addc_co_u32_e32 v2, vcc, v6, v2, vcc
	global_load_dwordx2 v[1:2], v[1:2], off glc
	s_waitcnt vmcnt(0)
	global_atomic_cmpswap_x2 v[5:6], v0, v[1:4], s[2:3] offset:24 glc
	s_waitcnt vmcnt(0)
	buffer_wbinvl1_vol
	v_cmp_ne_u64_e32 vcc, v[5:6], v[3:4]
	s_and_saveexec_b64 s[6:7], vcc
	s_cbranch_execz .LBB10_47
; %bb.44:
	s_mov_b64 s[8:9], 0
.LBB10_45:                              ; =>This Inner Loop Header: Depth=1
	s_sleep 1
	global_load_dwordx2 v[1:2], v0, s[2:3] offset:40
	global_load_dwordx2 v[7:8], v0, s[2:3]
	v_mov_b32_e32 v3, v5
	v_mov_b32_e32 v4, v6
	s_waitcnt vmcnt(1)
	v_and_b32_e32 v1, v1, v3
	s_waitcnt vmcnt(0)
	v_mad_u64_u32 v[5:6], s[10:11], v1, 24, v[7:8]
	v_and_b32_e32 v2, v2, v4
	v_mov_b32_e32 v1, v6
	v_mad_u64_u32 v[1:2], s[10:11], v2, 24, v[1:2]
	v_mov_b32_e32 v6, v1
	global_load_dwordx2 v[1:2], v[5:6], off glc
	s_waitcnt vmcnt(0)
	global_atomic_cmpswap_x2 v[5:6], v0, v[1:4], s[2:3] offset:24 glc
	s_waitcnt vmcnt(0)
	buffer_wbinvl1_vol
	v_cmp_eq_u64_e32 vcc, v[5:6], v[3:4]
	s_or_b64 s[8:9], vcc, s[8:9]
	s_andn2_b64 exec, exec, s[8:9]
	s_cbranch_execnz .LBB10_45
; %bb.46:
	s_or_b64 exec, exec, s[8:9]
.LBB10_47:
	s_or_b64 exec, exec, s[6:7]
.LBB10_48:
	s_or_b64 exec, exec, s[4:5]
	v_mov_b32_e32 v4, 0
	s_waitcnt lgkmcnt(0)
	global_load_dwordx2 v[7:8], v4, s[2:3] offset:40
	global_load_dwordx4 v[0:3], v4, s[2:3]
	v_readfirstlane_b32 s5, v6
	v_readfirstlane_b32 s4, v5
	s_mov_b64 s[6:7], exec
	s_waitcnt vmcnt(1)
	v_readfirstlane_b32 s8, v7
	v_readfirstlane_b32 s9, v8
	s_and_b64 s[8:9], s[8:9], s[4:5]
	s_mul_i32 s10, s9, 24
	s_mul_hi_u32 s11, s8, 24
	s_mul_i32 s12, s8, 24
	s_add_i32 s10, s11, s10
	v_mov_b32_e32 v5, s10
	s_waitcnt vmcnt(0)
	v_add_co_u32_e32 v7, vcc, s12, v0
	v_addc_co_u32_e32 v8, vcc, v1, v5, vcc
	s_and_saveexec_b64 s[10:11], s[0:1]
	s_cbranch_execz .LBB10_50
; %bb.49:
	v_mov_b32_e32 v10, s7
	v_mov_b32_e32 v9, s6
	;; [unrolled: 1-line block ×4, first 2 shown]
	global_store_dwordx4 v[7:8], v[9:12], off offset:8
.LBB10_50:
	s_or_b64 exec, exec, s[10:11]
	s_lshl_b64 s[6:7], s[8:9], 12
	v_mov_b32_e32 v5, s7
	v_add_co_u32_e32 v2, vcc, s6, v2
	v_addc_co_u32_e32 v11, vcc, v3, v5, vcc
	v_lshlrev_b32_e32 v31, 6, v32
	s_mov_b32 s8, 0
	v_mov_b32_e32 v3, 33
	v_mov_b32_e32 v5, v4
	;; [unrolled: 1-line block ×3, first 2 shown]
	v_readfirstlane_b32 s6, v2
	v_readfirstlane_b32 s7, v11
	v_add_co_u32_e32 v9, vcc, v2, v31
	s_mov_b32 s9, s8
	s_mov_b32 s10, s8
	;; [unrolled: 1-line block ×3, first 2 shown]
	s_nop 0
	global_store_dwordx4 v31, v[3:6], s[6:7]
	v_mov_b32_e32 v2, s8
	v_addc_co_u32_e32 v10, vcc, 0, v11, vcc
	v_mov_b32_e32 v3, s9
	v_mov_b32_e32 v4, s10
	;; [unrolled: 1-line block ×3, first 2 shown]
	global_store_dwordx4 v31, v[2:5], s[6:7] offset:16
	global_store_dwordx4 v31, v[2:5], s[6:7] offset:32
	;; [unrolled: 1-line block ×3, first 2 shown]
	s_and_saveexec_b64 s[6:7], s[0:1]
	s_cbranch_execz .LBB10_58
; %bb.51:
	v_mov_b32_e32 v6, 0
	global_load_dwordx2 v[13:14], v6, s[2:3] offset:32 glc
	global_load_dwordx2 v[2:3], v6, s[2:3] offset:40
	v_mov_b32_e32 v11, s4
	v_mov_b32_e32 v12, s5
	s_waitcnt vmcnt(0)
	v_and_b32_e32 v2, s4, v2
	v_and_b32_e32 v3, s5, v3
	v_mul_lo_u32 v3, v3, 24
	v_mul_hi_u32 v4, v2, 24
	v_mul_lo_u32 v2, v2, 24
	v_add_u32_e32 v3, v4, v3
	v_add_co_u32_e32 v4, vcc, v0, v2
	v_addc_co_u32_e32 v5, vcc, v1, v3, vcc
	global_store_dwordx2 v[4:5], v[13:14], off
	s_waitcnt vmcnt(0)
	global_atomic_cmpswap_x2 v[2:3], v6, v[11:14], s[2:3] offset:32 glc
	s_waitcnt vmcnt(0)
	v_cmp_ne_u64_e32 vcc, v[2:3], v[13:14]
	s_and_saveexec_b64 s[8:9], vcc
	s_cbranch_execz .LBB10_54
; %bb.52:
	s_mov_b64 s[10:11], 0
.LBB10_53:                              ; =>This Inner Loop Header: Depth=1
	s_sleep 1
	global_store_dwordx2 v[4:5], v[2:3], off
	v_mov_b32_e32 v0, s4
	v_mov_b32_e32 v1, s5
	s_waitcnt vmcnt(0)
	global_atomic_cmpswap_x2 v[0:1], v6, v[0:3], s[2:3] offset:32 glc
	s_waitcnt vmcnt(0)
	v_cmp_eq_u64_e32 vcc, v[0:1], v[2:3]
	v_mov_b32_e32 v3, v1
	s_or_b64 s[10:11], vcc, s[10:11]
	v_mov_b32_e32 v2, v0
	s_andn2_b64 exec, exec, s[10:11]
	s_cbranch_execnz .LBB10_53
.LBB10_54:
	s_or_b64 exec, exec, s[8:9]
	v_mov_b32_e32 v3, 0
	global_load_dwordx2 v[0:1], v3, s[2:3] offset:16
	s_mov_b64 s[8:9], exec
	v_mbcnt_lo_u32_b32 v2, s8, 0
	v_mbcnt_hi_u32_b32 v2, s9, v2
	v_cmp_eq_u32_e32 vcc, 0, v2
	s_and_saveexec_b64 s[10:11], vcc
	s_cbranch_execz .LBB10_56
; %bb.55:
	s_bcnt1_i32_b64 s8, s[8:9]
	v_mov_b32_e32 v2, s8
	s_waitcnt vmcnt(0)
	global_atomic_add_x2 v[0:1], v[2:3], off offset:8
.LBB10_56:
	s_or_b64 exec, exec, s[10:11]
	s_waitcnt vmcnt(0)
	global_load_dwordx2 v[2:3], v[0:1], off offset:16
	s_waitcnt vmcnt(0)
	v_cmp_eq_u64_e32 vcc, 0, v[2:3]
	s_cbranch_vccnz .LBB10_58
; %bb.57:
	global_load_dword v0, v[0:1], off offset:24
	v_mov_b32_e32 v1, 0
	s_waitcnt vmcnt(0)
	v_readfirstlane_b32 s8, v0
	s_and_b32 m0, s8, 0xffffff
	global_store_dwordx2 v[2:3], v[0:1], off
	s_sendmsg sendmsg(MSG_INTERRUPT)
.LBB10_58:
	s_or_b64 exec, exec, s[6:7]
	s_branch .LBB10_62
.LBB10_59:                              ;   in Loop: Header=BB10_62 Depth=1
	s_or_b64 exec, exec, s[6:7]
	v_readfirstlane_b32 s6, v0
	s_cmp_eq_u32 s6, 0
	s_cbranch_scc1 .LBB10_61
; %bb.60:                               ;   in Loop: Header=BB10_62 Depth=1
	s_sleep 1
	s_cbranch_execnz .LBB10_62
	s_branch .LBB10_64
.LBB10_61:
	s_branch .LBB10_64
.LBB10_62:                              ; =>This Inner Loop Header: Depth=1
	v_mov_b32_e32 v0, 1
	s_and_saveexec_b64 s[6:7], s[0:1]
	s_cbranch_execz .LBB10_59
; %bb.63:                               ;   in Loop: Header=BB10_62 Depth=1
	global_load_dword v0, v[7:8], off offset:20 glc
	s_waitcnt vmcnt(0)
	buffer_wbinvl1_vol
	v_and_b32_e32 v0, 1, v0
	s_branch .LBB10_59
.LBB10_64:
	global_load_dwordx2 v[0:1], v[9:10], off
	s_and_saveexec_b64 s[6:7], s[0:1]
	s_cbranch_execz .LBB10_67
; %bb.65:
	v_mov_b32_e32 v8, 0
	global_load_dwordx2 v[2:3], v8, s[2:3] offset:40
	global_load_dwordx2 v[11:12], v8, s[2:3] offset:24 glc
	global_load_dwordx2 v[4:5], v8, s[2:3]
	s_waitcnt vmcnt(2)
	v_readfirstlane_b32 s8, v2
	v_readfirstlane_b32 s9, v3
	s_add_u32 s10, s8, 1
	s_addc_u32 s11, s9, 0
	s_add_u32 s0, s10, s4
	s_addc_u32 s1, s11, s5
	s_cmp_eq_u64 s[0:1], 0
	s_cselect_b32 s1, s11, s1
	s_cselect_b32 s0, s10, s0
	s_and_b64 s[4:5], s[0:1], s[8:9]
	s_mul_i32 s5, s5, 24
	s_mul_hi_u32 s8, s4, 24
	s_mul_i32 s4, s4, 24
	s_add_i32 s5, s8, s5
	v_mov_b32_e32 v2, s5
	s_waitcnt vmcnt(0)
	v_add_co_u32_e32 v6, vcc, s4, v4
	v_addc_co_u32_e32 v7, vcc, v5, v2, vcc
	v_mov_b32_e32 v9, s0
	global_store_dwordx2 v[6:7], v[11:12], off
	v_mov_b32_e32 v10, s1
	s_waitcnt vmcnt(0)
	global_atomic_cmpswap_x2 v[4:5], v8, v[9:12], s[2:3] offset:24 glc
	s_mov_b64 s[4:5], 0
	s_waitcnt vmcnt(0)
	v_cmp_ne_u64_e32 vcc, v[4:5], v[11:12]
	s_and_b64 exec, exec, vcc
	s_cbranch_execz .LBB10_67
.LBB10_66:                              ; =>This Inner Loop Header: Depth=1
	s_sleep 1
	global_store_dwordx2 v[6:7], v[4:5], off
	v_mov_b32_e32 v2, s0
	v_mov_b32_e32 v3, s1
	s_waitcnt vmcnt(0)
	global_atomic_cmpswap_x2 v[2:3], v8, v[2:5], s[2:3] offset:24 glc
	s_waitcnt vmcnt(0)
	v_cmp_eq_u64_e32 vcc, v[2:3], v[4:5]
	v_mov_b32_e32 v5, v3
	s_or_b64 s[4:5], vcc, s[4:5]
	v_mov_b32_e32 v4, v2
	s_andn2_b64 exec, exec, s[4:5]
	s_cbranch_execnz .LBB10_66
.LBB10_67:
	s_or_b64 exec, exec, s[6:7]
	s_getpc_b64 s[4:5]
	s_add_u32 s4, s4, .str@rel32@lo+4
	s_addc_u32 s5, s5, .str@rel32@hi+12
	s_cmp_lg_u64 s[4:5], 0
	s_cselect_b64 s[0:1], -1, 0
	s_cmp_eq_u64 s[4:5], 0
	s_mov_b64 s[4:5], 0
	s_cbranch_scc1 .LBB10_71
; %bb.68:
	v_mov_b32_e32 v2, 0
	s_getpc_b64 s[4:5]
	s_add_u32 s4, s4, .str@rel32@lo+3
	s_addc_u32 s5, s5, .str@rel32@hi+11
.LBB10_69:                              ; =>This Inner Loop Header: Depth=1
	global_load_ubyte v3, v2, s[4:5] offset:1
	s_add_u32 s6, s4, 1
	s_addc_u32 s7, s5, 0
	s_mov_b64 s[4:5], s[6:7]
	s_waitcnt vmcnt(0)
	v_cmp_ne_u32_e32 vcc, 0, v3
	s_cbranch_vccnz .LBB10_69
; %bb.70:
	s_getpc_b64 s[4:5]
	s_add_u32 s4, s4, .str@rel32@lo+4
	s_addc_u32 s5, s5, .str@rel32@hi+12
	s_sub_u32 s4, s6, s4
	s_subb_u32 s5, s7, s5
	s_add_u32 s4, s4, 1
	s_addc_u32 s5, s5, 0
.LBB10_71:
	s_and_b64 vcc, exec, s[0:1]
	s_cbranch_vccz .LBB10_156
; %bb.72:
	s_waitcnt vmcnt(0)
	v_and_b32_e32 v33, 2, v0
	v_mov_b32_e32 v28, 0
	v_and_b32_e32 v4, -3, v0
	v_mov_b32_e32 v5, v1
	v_mov_b32_e32 v10, 2
	;; [unrolled: 1-line block ×3, first 2 shown]
	s_getpc_b64 s[6:7]
	s_add_u32 s6, s6, .str@rel32@lo+4
	s_addc_u32 s7, s7, .str@rel32@hi+12
	s_branch .LBB10_74
.LBB10_73:                              ;   in Loop: Header=BB10_74 Depth=1
	s_or_b64 exec, exec, s[12:13]
	s_sub_u32 s4, s4, s8
	s_subb_u32 s5, s5, s9
	s_add_u32 s6, s6, s8
	s_addc_u32 s7, s7, s9
	s_cmp_lg_u64 s[4:5], 0
	s_cbranch_scc0 .LBB10_157
.LBB10_74:                              ; =>This Loop Header: Depth=1
                                        ;     Child Loop BB10_77 Depth 2
                                        ;     Child Loop BB10_85 Depth 2
                                        ;     Child Loop BB10_93 Depth 2
                                        ;     Child Loop BB10_101 Depth 2
                                        ;     Child Loop BB10_109 Depth 2
                                        ;     Child Loop BB10_117 Depth 2
                                        ;     Child Loop BB10_125 Depth 2
                                        ;     Child Loop BB10_133 Depth 2
                                        ;     Child Loop BB10_141 Depth 2
                                        ;     Child Loop BB10_150 Depth 2
                                        ;     Child Loop BB10_155 Depth 2
	v_cmp_lt_u64_e64 s[0:1], s[4:5], 56
	v_cmp_gt_u64_e64 s[10:11], s[4:5], 7
	s_and_b64 s[0:1], s[0:1], exec
	s_cselect_b32 s9, s5, 0
	s_cselect_b32 s8, s4, 56
	s_add_u32 s0, s6, 8
	s_addc_u32 s1, s7, 0
	s_and_b64 vcc, exec, s[10:11]
	s_cbranch_vccnz .LBB10_78
; %bb.75:                               ;   in Loop: Header=BB10_74 Depth=1
	s_cmp_eq_u64 s[4:5], 0
	s_cbranch_scc1 .LBB10_79
; %bb.76:                               ;   in Loop: Header=BB10_74 Depth=1
	v_mov_b32_e32 v6, 0
	s_lshl_b64 s[0:1], s[8:9], 3
	s_mov_b64 s[10:11], 0
	v_mov_b32_e32 v7, 0
	s_mov_b64 s[12:13], s[6:7]
.LBB10_77:                              ;   Parent Loop BB10_74 Depth=1
                                        ; =>  This Inner Loop Header: Depth=2
	global_load_ubyte v2, v28, s[12:13]
	s_waitcnt vmcnt(0)
	v_and_b32_e32 v27, 0xffff, v2
	v_lshlrev_b64 v[2:3], s10, v[27:28]
	s_add_u32 s10, s10, 8
	s_addc_u32 s11, s11, 0
	s_add_u32 s12, s12, 1
	s_addc_u32 s13, s13, 0
	v_or_b32_e32 v6, v2, v6
	s_cmp_lg_u32 s0, s10
	v_or_b32_e32 v7, v3, v7
	s_cbranch_scc1 .LBB10_77
	s_branch .LBB10_80
.LBB10_78:                              ;   in Loop: Header=BB10_74 Depth=1
	s_mov_b32 s14, 0
	s_branch .LBB10_81
.LBB10_79:                              ;   in Loop: Header=BB10_74 Depth=1
	v_mov_b32_e32 v6, 0
	v_mov_b32_e32 v7, 0
.LBB10_80:                              ;   in Loop: Header=BB10_74 Depth=1
	s_mov_b64 s[0:1], s[6:7]
	s_mov_b32 s14, 0
	s_cbranch_execnz .LBB10_82
.LBB10_81:                              ;   in Loop: Header=BB10_74 Depth=1
	global_load_dwordx2 v[6:7], v28, s[6:7]
	s_add_i32 s14, s8, -8
.LBB10_82:                              ;   in Loop: Header=BB10_74 Depth=1
	s_add_u32 s10, s0, 8
	s_addc_u32 s11, s1, 0
	s_cmp_gt_u32 s14, 7
	s_cbranch_scc1 .LBB10_86
; %bb.83:                               ;   in Loop: Header=BB10_74 Depth=1
	s_cmp_eq_u32 s14, 0
	s_cbranch_scc1 .LBB10_87
; %bb.84:                               ;   in Loop: Header=BB10_74 Depth=1
	v_mov_b32_e32 v12, 0
	s_mov_b64 s[10:11], 0
	v_mov_b32_e32 v13, 0
	s_mov_b64 s[12:13], 0
.LBB10_85:                              ;   Parent Loop BB10_74 Depth=1
                                        ; =>  This Inner Loop Header: Depth=2
	s_add_u32 s16, s0, s12
	s_addc_u32 s17, s1, s13
	global_load_ubyte v2, v28, s[16:17]
	s_add_u32 s12, s12, 1
	s_addc_u32 s13, s13, 0
	s_waitcnt vmcnt(0)
	v_and_b32_e32 v27, 0xffff, v2
	v_lshlrev_b64 v[2:3], s10, v[27:28]
	s_add_u32 s10, s10, 8
	s_addc_u32 s11, s11, 0
	v_or_b32_e32 v12, v2, v12
	s_cmp_lg_u32 s14, s12
	v_or_b32_e32 v13, v3, v13
	s_cbranch_scc1 .LBB10_85
	s_branch .LBB10_88
.LBB10_86:                              ;   in Loop: Header=BB10_74 Depth=1
                                        ; implicit-def: $vgpr12_vgpr13
	s_mov_b32 s15, 0
	s_branch .LBB10_89
.LBB10_87:                              ;   in Loop: Header=BB10_74 Depth=1
	v_mov_b32_e32 v12, 0
	v_mov_b32_e32 v13, 0
.LBB10_88:                              ;   in Loop: Header=BB10_74 Depth=1
	s_mov_b64 s[10:11], s[0:1]
	s_mov_b32 s15, 0
	s_cbranch_execnz .LBB10_90
.LBB10_89:                              ;   in Loop: Header=BB10_74 Depth=1
	global_load_dwordx2 v[12:13], v28, s[0:1]
	s_add_i32 s15, s14, -8
.LBB10_90:                              ;   in Loop: Header=BB10_74 Depth=1
	s_add_u32 s0, s10, 8
	s_addc_u32 s1, s11, 0
	s_cmp_gt_u32 s15, 7
	s_cbranch_scc1 .LBB10_94
; %bb.91:                               ;   in Loop: Header=BB10_74 Depth=1
	s_cmp_eq_u32 s15, 0
	s_cbranch_scc1 .LBB10_95
; %bb.92:                               ;   in Loop: Header=BB10_74 Depth=1
	v_mov_b32_e32 v14, 0
	s_mov_b64 s[0:1], 0
	v_mov_b32_e32 v15, 0
	s_mov_b64 s[12:13], 0
.LBB10_93:                              ;   Parent Loop BB10_74 Depth=1
                                        ; =>  This Inner Loop Header: Depth=2
	s_add_u32 s16, s10, s12
	s_addc_u32 s17, s11, s13
	global_load_ubyte v2, v28, s[16:17]
	s_add_u32 s12, s12, 1
	s_addc_u32 s13, s13, 0
	s_waitcnt vmcnt(0)
	v_and_b32_e32 v27, 0xffff, v2
	v_lshlrev_b64 v[2:3], s0, v[27:28]
	s_add_u32 s0, s0, 8
	s_addc_u32 s1, s1, 0
	v_or_b32_e32 v14, v2, v14
	s_cmp_lg_u32 s15, s12
	v_or_b32_e32 v15, v3, v15
	s_cbranch_scc1 .LBB10_93
	s_branch .LBB10_96
.LBB10_94:                              ;   in Loop: Header=BB10_74 Depth=1
	s_mov_b32 s14, 0
	s_branch .LBB10_97
.LBB10_95:                              ;   in Loop: Header=BB10_74 Depth=1
	v_mov_b32_e32 v14, 0
	v_mov_b32_e32 v15, 0
.LBB10_96:                              ;   in Loop: Header=BB10_74 Depth=1
	s_mov_b64 s[0:1], s[10:11]
	s_mov_b32 s14, 0
	s_cbranch_execnz .LBB10_98
.LBB10_97:                              ;   in Loop: Header=BB10_74 Depth=1
	global_load_dwordx2 v[14:15], v28, s[10:11]
	s_add_i32 s14, s15, -8
.LBB10_98:                              ;   in Loop: Header=BB10_74 Depth=1
	s_add_u32 s10, s0, 8
	s_addc_u32 s11, s1, 0
	s_cmp_gt_u32 s14, 7
	s_cbranch_scc1 .LBB10_102
; %bb.99:                               ;   in Loop: Header=BB10_74 Depth=1
	s_cmp_eq_u32 s14, 0
	s_cbranch_scc1 .LBB10_103
; %bb.100:                              ;   in Loop: Header=BB10_74 Depth=1
	v_mov_b32_e32 v16, 0
	s_mov_b64 s[10:11], 0
	v_mov_b32_e32 v17, 0
	s_mov_b64 s[12:13], 0
.LBB10_101:                             ;   Parent Loop BB10_74 Depth=1
                                        ; =>  This Inner Loop Header: Depth=2
	s_add_u32 s16, s0, s12
	s_addc_u32 s17, s1, s13
	global_load_ubyte v2, v28, s[16:17]
	s_add_u32 s12, s12, 1
	s_addc_u32 s13, s13, 0
	s_waitcnt vmcnt(0)
	v_and_b32_e32 v27, 0xffff, v2
	v_lshlrev_b64 v[2:3], s10, v[27:28]
	s_add_u32 s10, s10, 8
	s_addc_u32 s11, s11, 0
	v_or_b32_e32 v16, v2, v16
	s_cmp_lg_u32 s14, s12
	v_or_b32_e32 v17, v3, v17
	s_cbranch_scc1 .LBB10_101
	s_branch .LBB10_104
.LBB10_102:                             ;   in Loop: Header=BB10_74 Depth=1
                                        ; implicit-def: $vgpr16_vgpr17
	s_mov_b32 s15, 0
	s_branch .LBB10_105
.LBB10_103:                             ;   in Loop: Header=BB10_74 Depth=1
	v_mov_b32_e32 v16, 0
	v_mov_b32_e32 v17, 0
.LBB10_104:                             ;   in Loop: Header=BB10_74 Depth=1
	s_mov_b64 s[10:11], s[0:1]
	s_mov_b32 s15, 0
	s_cbranch_execnz .LBB10_106
.LBB10_105:                             ;   in Loop: Header=BB10_74 Depth=1
	global_load_dwordx2 v[16:17], v28, s[0:1]
	s_add_i32 s15, s14, -8
.LBB10_106:                             ;   in Loop: Header=BB10_74 Depth=1
	s_add_u32 s0, s10, 8
	s_addc_u32 s1, s11, 0
	s_cmp_gt_u32 s15, 7
	s_cbranch_scc1 .LBB10_110
; %bb.107:                              ;   in Loop: Header=BB10_74 Depth=1
	s_cmp_eq_u32 s15, 0
	s_cbranch_scc1 .LBB10_111
; %bb.108:                              ;   in Loop: Header=BB10_74 Depth=1
	v_mov_b32_e32 v18, 0
	s_mov_b64 s[0:1], 0
	v_mov_b32_e32 v19, 0
	s_mov_b64 s[12:13], 0
.LBB10_109:                             ;   Parent Loop BB10_74 Depth=1
                                        ; =>  This Inner Loop Header: Depth=2
	s_add_u32 s16, s10, s12
	s_addc_u32 s17, s11, s13
	global_load_ubyte v2, v28, s[16:17]
	s_add_u32 s12, s12, 1
	s_addc_u32 s13, s13, 0
	s_waitcnt vmcnt(0)
	v_and_b32_e32 v27, 0xffff, v2
	v_lshlrev_b64 v[2:3], s0, v[27:28]
	s_add_u32 s0, s0, 8
	s_addc_u32 s1, s1, 0
	v_or_b32_e32 v18, v2, v18
	s_cmp_lg_u32 s15, s12
	v_or_b32_e32 v19, v3, v19
	s_cbranch_scc1 .LBB10_109
	s_branch .LBB10_112
.LBB10_110:                             ;   in Loop: Header=BB10_74 Depth=1
	s_mov_b32 s14, 0
	s_branch .LBB10_113
.LBB10_111:                             ;   in Loop: Header=BB10_74 Depth=1
	v_mov_b32_e32 v18, 0
	v_mov_b32_e32 v19, 0
.LBB10_112:                             ;   in Loop: Header=BB10_74 Depth=1
	s_mov_b64 s[0:1], s[10:11]
	s_mov_b32 s14, 0
	s_cbranch_execnz .LBB10_114
.LBB10_113:                             ;   in Loop: Header=BB10_74 Depth=1
	global_load_dwordx2 v[18:19], v28, s[10:11]
	s_add_i32 s14, s15, -8
.LBB10_114:                             ;   in Loop: Header=BB10_74 Depth=1
	s_add_u32 s10, s0, 8
	s_addc_u32 s11, s1, 0
	s_cmp_gt_u32 s14, 7
	s_cbranch_scc1 .LBB10_118
; %bb.115:                              ;   in Loop: Header=BB10_74 Depth=1
	s_cmp_eq_u32 s14, 0
	s_cbranch_scc1 .LBB10_119
; %bb.116:                              ;   in Loop: Header=BB10_74 Depth=1
	v_mov_b32_e32 v20, 0
	s_mov_b64 s[10:11], 0
	v_mov_b32_e32 v21, 0
	s_mov_b64 s[12:13], 0
.LBB10_117:                             ;   Parent Loop BB10_74 Depth=1
                                        ; =>  This Inner Loop Header: Depth=2
	s_add_u32 s16, s0, s12
	s_addc_u32 s17, s1, s13
	global_load_ubyte v2, v28, s[16:17]
	s_add_u32 s12, s12, 1
	s_addc_u32 s13, s13, 0
	s_waitcnt vmcnt(0)
	v_and_b32_e32 v27, 0xffff, v2
	v_lshlrev_b64 v[2:3], s10, v[27:28]
	s_add_u32 s10, s10, 8
	s_addc_u32 s11, s11, 0
	v_or_b32_e32 v20, v2, v20
	s_cmp_lg_u32 s14, s12
	v_or_b32_e32 v21, v3, v21
	s_cbranch_scc1 .LBB10_117
	s_branch .LBB10_120
.LBB10_118:                             ;   in Loop: Header=BB10_74 Depth=1
                                        ; implicit-def: $vgpr20_vgpr21
	s_mov_b32 s15, 0
	s_branch .LBB10_121
.LBB10_119:                             ;   in Loop: Header=BB10_74 Depth=1
	v_mov_b32_e32 v20, 0
	v_mov_b32_e32 v21, 0
.LBB10_120:                             ;   in Loop: Header=BB10_74 Depth=1
	s_mov_b64 s[10:11], s[0:1]
	s_mov_b32 s15, 0
	s_cbranch_execnz .LBB10_122
.LBB10_121:                             ;   in Loop: Header=BB10_74 Depth=1
	global_load_dwordx2 v[20:21], v28, s[0:1]
	s_add_i32 s15, s14, -8
.LBB10_122:                             ;   in Loop: Header=BB10_74 Depth=1
	s_cmp_gt_u32 s15, 7
	s_cbranch_scc1 .LBB10_126
; %bb.123:                              ;   in Loop: Header=BB10_74 Depth=1
	s_cmp_eq_u32 s15, 0
	s_cbranch_scc1 .LBB10_127
; %bb.124:                              ;   in Loop: Header=BB10_74 Depth=1
	v_mov_b32_e32 v22, 0
	s_mov_b64 s[0:1], 0
	v_mov_b32_e32 v23, 0
	s_mov_b64 s[12:13], s[10:11]
.LBB10_125:                             ;   Parent Loop BB10_74 Depth=1
                                        ; =>  This Inner Loop Header: Depth=2
	global_load_ubyte v2, v28, s[12:13]
	s_add_i32 s15, s15, -1
	s_waitcnt vmcnt(0)
	v_and_b32_e32 v27, 0xffff, v2
	v_lshlrev_b64 v[2:3], s0, v[27:28]
	s_add_u32 s0, s0, 8
	s_addc_u32 s1, s1, 0
	s_add_u32 s12, s12, 1
	s_addc_u32 s13, s13, 0
	v_or_b32_e32 v22, v2, v22
	s_cmp_lg_u32 s15, 0
	v_or_b32_e32 v23, v3, v23
	s_cbranch_scc1 .LBB10_125
	s_branch .LBB10_128
.LBB10_126:                             ;   in Loop: Header=BB10_74 Depth=1
	s_branch .LBB10_129
.LBB10_127:                             ;   in Loop: Header=BB10_74 Depth=1
	v_mov_b32_e32 v22, 0
	v_mov_b32_e32 v23, 0
.LBB10_128:                             ;   in Loop: Header=BB10_74 Depth=1
	s_cbranch_execnz .LBB10_130
.LBB10_129:                             ;   in Loop: Header=BB10_74 Depth=1
	global_load_dwordx2 v[22:23], v28, s[10:11]
.LBB10_130:                             ;   in Loop: Header=BB10_74 Depth=1
	v_readfirstlane_b32 s0, v32
	v_mov_b32_e32 v2, 0
	v_mov_b32_e32 v3, 0
	v_cmp_eq_u32_e64 s[0:1], s0, v32
	s_and_saveexec_b64 s[10:11], s[0:1]
	s_cbranch_execz .LBB10_136
; %bb.131:                              ;   in Loop: Header=BB10_74 Depth=1
	global_load_dwordx2 v[26:27], v28, s[2:3] offset:24 glc
	s_waitcnt vmcnt(0)
	buffer_wbinvl1_vol
	global_load_dwordx2 v[2:3], v28, s[2:3] offset:40
	global_load_dwordx2 v[8:9], v28, s[2:3]
	s_waitcnt vmcnt(1)
	v_and_b32_e32 v2, v2, v26
	v_and_b32_e32 v3, v3, v27
	v_mul_lo_u32 v3, v3, 24
	v_mul_hi_u32 v24, v2, 24
	v_mul_lo_u32 v2, v2, 24
	v_add_u32_e32 v3, v24, v3
	s_waitcnt vmcnt(0)
	v_add_co_u32_e32 v2, vcc, v8, v2
	v_addc_co_u32_e32 v3, vcc, v9, v3, vcc
	global_load_dwordx2 v[24:25], v[2:3], off glc
	s_waitcnt vmcnt(0)
	global_atomic_cmpswap_x2 v[2:3], v28, v[24:27], s[2:3] offset:24 glc
	s_waitcnt vmcnt(0)
	buffer_wbinvl1_vol
	v_cmp_ne_u64_e32 vcc, v[2:3], v[26:27]
	s_and_saveexec_b64 s[12:13], vcc
	s_cbranch_execz .LBB10_135
; %bb.132:                              ;   in Loop: Header=BB10_74 Depth=1
	s_mov_b64 s[14:15], 0
.LBB10_133:                             ;   Parent Loop BB10_74 Depth=1
                                        ; =>  This Inner Loop Header: Depth=2
	s_sleep 1
	global_load_dwordx2 v[8:9], v28, s[2:3] offset:40
	global_load_dwordx2 v[24:25], v28, s[2:3]
	v_mov_b32_e32 v27, v3
	v_mov_b32_e32 v26, v2
	s_waitcnt vmcnt(1)
	v_and_b32_e32 v2, v8, v26
	s_waitcnt vmcnt(0)
	v_mad_u64_u32 v[2:3], s[16:17], v2, 24, v[24:25]
	v_and_b32_e32 v8, v9, v27
	v_mad_u64_u32 v[8:9], s[16:17], v8, 24, v[3:4]
	v_mov_b32_e32 v3, v8
	global_load_dwordx2 v[24:25], v[2:3], off glc
	s_waitcnt vmcnt(0)
	global_atomic_cmpswap_x2 v[2:3], v28, v[24:27], s[2:3] offset:24 glc
	s_waitcnt vmcnt(0)
	buffer_wbinvl1_vol
	v_cmp_eq_u64_e32 vcc, v[2:3], v[26:27]
	s_or_b64 s[14:15], vcc, s[14:15]
	s_andn2_b64 exec, exec, s[14:15]
	s_cbranch_execnz .LBB10_133
; %bb.134:                              ;   in Loop: Header=BB10_74 Depth=1
	s_or_b64 exec, exec, s[14:15]
.LBB10_135:                             ;   in Loop: Header=BB10_74 Depth=1
	s_or_b64 exec, exec, s[12:13]
.LBB10_136:                             ;   in Loop: Header=BB10_74 Depth=1
	s_or_b64 exec, exec, s[10:11]
	global_load_dwordx2 v[8:9], v28, s[2:3] offset:40
	global_load_dwordx4 v[24:27], v28, s[2:3]
	v_readfirstlane_b32 s11, v3
	v_readfirstlane_b32 s10, v2
	s_mov_b64 s[12:13], exec
	s_waitcnt vmcnt(1)
	v_readfirstlane_b32 s14, v8
	v_readfirstlane_b32 s15, v9
	s_and_b64 s[14:15], s[14:15], s[10:11]
	s_mul_i32 s16, s15, 24
	s_mul_hi_u32 s17, s14, 24
	s_mul_i32 s18, s14, 24
	s_add_i32 s16, s17, s16
	v_mov_b32_e32 v2, s16
	s_waitcnt vmcnt(0)
	v_add_co_u32_e32 v29, vcc, s18, v24
	v_addc_co_u32_e32 v30, vcc, v25, v2, vcc
	s_and_saveexec_b64 s[16:17], s[0:1]
	s_cbranch_execz .LBB10_138
; %bb.137:                              ;   in Loop: Header=BB10_74 Depth=1
	v_mov_b32_e32 v8, s12
	v_mov_b32_e32 v9, s13
	global_store_dwordx4 v[29:30], v[8:11], off offset:8
.LBB10_138:                             ;   in Loop: Header=BB10_74 Depth=1
	s_or_b64 exec, exec, s[16:17]
	s_lshl_b64 s[12:13], s[14:15], 12
	v_mov_b32_e32 v2, s13
	v_add_co_u32_e32 v8, vcc, s12, v26
	v_addc_co_u32_e32 v9, vcc, v27, v2, vcc
	v_cmp_lt_u64_e64 vcc, s[4:5], 57
	s_lshl_b32 s12, s8, 2
	v_cndmask_b32_e32 v2, 0, v33, vcc
	s_add_i32 s12, s12, 28
	v_and_b32_e32 v3, 0xffffff1f, v4
	s_and_b32 s12, s12, 0x1e0
	v_or_b32_e32 v2, v3, v2
	v_or_b32_e32 v4, s12, v2
	v_readfirstlane_b32 s12, v8
	v_readfirstlane_b32 s13, v9
	s_nop 4
	global_store_dwordx4 v31, v[4:7], s[12:13]
	global_store_dwordx4 v31, v[12:15], s[12:13] offset:16
	global_store_dwordx4 v31, v[16:19], s[12:13] offset:32
	;; [unrolled: 1-line block ×3, first 2 shown]
	s_and_saveexec_b64 s[12:13], s[0:1]
	s_cbranch_execz .LBB10_146
; %bb.139:                              ;   in Loop: Header=BB10_74 Depth=1
	global_load_dwordx2 v[14:15], v28, s[2:3] offset:32 glc
	global_load_dwordx2 v[2:3], v28, s[2:3] offset:40
	v_mov_b32_e32 v12, s10
	v_mov_b32_e32 v13, s11
	s_waitcnt vmcnt(0)
	v_readfirstlane_b32 s14, v2
	v_readfirstlane_b32 s15, v3
	s_and_b64 s[14:15], s[14:15], s[10:11]
	s_mul_i32 s15, s15, 24
	s_mul_hi_u32 s16, s14, 24
	s_mul_i32 s14, s14, 24
	s_add_i32 s15, s16, s15
	v_mov_b32_e32 v2, s15
	v_add_co_u32_e32 v6, vcc, s14, v24
	v_addc_co_u32_e32 v7, vcc, v25, v2, vcc
	global_store_dwordx2 v[6:7], v[14:15], off
	s_waitcnt vmcnt(0)
	global_atomic_cmpswap_x2 v[4:5], v28, v[12:15], s[2:3] offset:32 glc
	s_waitcnt vmcnt(0)
	v_cmp_ne_u64_e32 vcc, v[4:5], v[14:15]
	s_and_saveexec_b64 s[14:15], vcc
	s_cbranch_execz .LBB10_142
; %bb.140:                              ;   in Loop: Header=BB10_74 Depth=1
	s_mov_b64 s[16:17], 0
.LBB10_141:                             ;   Parent Loop BB10_74 Depth=1
                                        ; =>  This Inner Loop Header: Depth=2
	s_sleep 1
	global_store_dwordx2 v[6:7], v[4:5], off
	v_mov_b32_e32 v2, s10
	v_mov_b32_e32 v3, s11
	s_waitcnt vmcnt(0)
	global_atomic_cmpswap_x2 v[2:3], v28, v[2:5], s[2:3] offset:32 glc
	s_waitcnt vmcnt(0)
	v_cmp_eq_u64_e32 vcc, v[2:3], v[4:5]
	v_mov_b32_e32 v5, v3
	s_or_b64 s[16:17], vcc, s[16:17]
	v_mov_b32_e32 v4, v2
	s_andn2_b64 exec, exec, s[16:17]
	s_cbranch_execnz .LBB10_141
.LBB10_142:                             ;   in Loop: Header=BB10_74 Depth=1
	s_or_b64 exec, exec, s[14:15]
	global_load_dwordx2 v[2:3], v28, s[2:3] offset:16
	s_mov_b64 s[16:17], exec
	v_mbcnt_lo_u32_b32 v4, s16, 0
	v_mbcnt_hi_u32_b32 v4, s17, v4
	v_cmp_eq_u32_e32 vcc, 0, v4
	s_and_saveexec_b64 s[14:15], vcc
	s_cbranch_execz .LBB10_144
; %bb.143:                              ;   in Loop: Header=BB10_74 Depth=1
	s_bcnt1_i32_b64 s16, s[16:17]
	v_mov_b32_e32 v27, s16
	s_waitcnt vmcnt(0)
	global_atomic_add_x2 v[2:3], v[27:28], off offset:8
.LBB10_144:                             ;   in Loop: Header=BB10_74 Depth=1
	s_or_b64 exec, exec, s[14:15]
	s_waitcnt vmcnt(0)
	global_load_dwordx2 v[4:5], v[2:3], off offset:16
	s_waitcnt vmcnt(0)
	v_cmp_eq_u64_e32 vcc, 0, v[4:5]
	s_cbranch_vccnz .LBB10_146
; %bb.145:                              ;   in Loop: Header=BB10_74 Depth=1
	global_load_dword v27, v[2:3], off offset:24
	s_waitcnt vmcnt(0)
	v_readfirstlane_b32 s14, v27
	s_and_b32 m0, s14, 0xffffff
	global_store_dwordx2 v[4:5], v[27:28], off
	s_sendmsg sendmsg(MSG_INTERRUPT)
.LBB10_146:                             ;   in Loop: Header=BB10_74 Depth=1
	s_or_b64 exec, exec, s[12:13]
	v_add_co_u32_e32 v2, vcc, v8, v31
	v_addc_co_u32_e32 v3, vcc, 0, v9, vcc
	s_branch .LBB10_150
.LBB10_147:                             ;   in Loop: Header=BB10_150 Depth=2
	s_or_b64 exec, exec, s[12:13]
	v_readfirstlane_b32 s12, v4
	s_cmp_eq_u32 s12, 0
	s_cbranch_scc1 .LBB10_149
; %bb.148:                              ;   in Loop: Header=BB10_150 Depth=2
	s_sleep 1
	s_cbranch_execnz .LBB10_150
	s_branch .LBB10_152
.LBB10_149:                             ;   in Loop: Header=BB10_74 Depth=1
	s_branch .LBB10_152
.LBB10_150:                             ;   Parent Loop BB10_74 Depth=1
                                        ; =>  This Inner Loop Header: Depth=2
	v_mov_b32_e32 v4, 1
	s_and_saveexec_b64 s[12:13], s[0:1]
	s_cbranch_execz .LBB10_147
; %bb.151:                              ;   in Loop: Header=BB10_150 Depth=2
	global_load_dword v4, v[29:30], off offset:20 glc
	s_waitcnt vmcnt(0)
	buffer_wbinvl1_vol
	v_and_b32_e32 v4, 1, v4
	s_branch .LBB10_147
.LBB10_152:                             ;   in Loop: Header=BB10_74 Depth=1
	global_load_dwordx2 v[4:5], v[2:3], off
	s_and_saveexec_b64 s[12:13], s[0:1]
	s_cbranch_execz .LBB10_73
; %bb.153:                              ;   in Loop: Header=BB10_74 Depth=1
	global_load_dwordx2 v[2:3], v28, s[2:3] offset:40
	global_load_dwordx2 v[14:15], v28, s[2:3] offset:24 glc
	global_load_dwordx2 v[6:7], v28, s[2:3]
	s_waitcnt vmcnt(2)
	v_readfirstlane_b32 s14, v2
	v_readfirstlane_b32 s15, v3
	s_add_u32 s16, s14, 1
	s_addc_u32 s17, s15, 0
	s_add_u32 s0, s16, s10
	s_addc_u32 s1, s17, s11
	s_cmp_eq_u64 s[0:1], 0
	s_cselect_b32 s1, s17, s1
	s_cselect_b32 s0, s16, s0
	s_and_b64 s[10:11], s[0:1], s[14:15]
	s_mul_i32 s11, s11, 24
	s_mul_hi_u32 s14, s10, 24
	s_mul_i32 s10, s10, 24
	s_add_i32 s11, s14, s11
	v_mov_b32_e32 v3, s11
	s_waitcnt vmcnt(0)
	v_add_co_u32_e32 v2, vcc, s10, v6
	v_addc_co_u32_e32 v3, vcc, v7, v3, vcc
	v_mov_b32_e32 v12, s0
	global_store_dwordx2 v[2:3], v[14:15], off
	v_mov_b32_e32 v13, s1
	s_waitcnt vmcnt(0)
	global_atomic_cmpswap_x2 v[8:9], v28, v[12:15], s[2:3] offset:24 glc
	s_waitcnt vmcnt(0)
	v_cmp_ne_u64_e32 vcc, v[8:9], v[14:15]
	s_and_b64 exec, exec, vcc
	s_cbranch_execz .LBB10_73
; %bb.154:                              ;   in Loop: Header=BB10_74 Depth=1
	s_mov_b64 s[10:11], 0
.LBB10_155:                             ;   Parent Loop BB10_74 Depth=1
                                        ; =>  This Inner Loop Header: Depth=2
	s_sleep 1
	global_store_dwordx2 v[2:3], v[8:9], off
	v_mov_b32_e32 v6, s0
	v_mov_b32_e32 v7, s1
	s_waitcnt vmcnt(0)
	global_atomic_cmpswap_x2 v[6:7], v28, v[6:9], s[2:3] offset:24 glc
	s_waitcnt vmcnt(0)
	v_cmp_eq_u64_e32 vcc, v[6:7], v[8:9]
	v_mov_b32_e32 v9, v7
	s_or_b64 s[10:11], vcc, s[10:11]
	v_mov_b32_e32 v8, v6
	s_andn2_b64 exec, exec, s[10:11]
	s_cbranch_execnz .LBB10_155
	s_branch .LBB10_73
.LBB10_156:
	s_mov_b64 s[0:1], -1
                                        ; implicit-def: $vgpr4_vgpr5
	s_branch .LBB10_158
.LBB10_157:
	s_mov_b64 s[0:1], 0
.LBB10_158:
	s_and_b64 vcc, exec, s[0:1]
	s_cbranch_vccz .LBB10_185
; %bb.159:
	v_readfirstlane_b32 s0, v32
	v_mov_b32_e32 v8, 0
	v_mov_b32_e32 v9, 0
	v_cmp_eq_u32_e64 s[0:1], s0, v32
	s_and_saveexec_b64 s[4:5], s[0:1]
	s_cbranch_execz .LBB10_165
; %bb.160:
	v_mov_b32_e32 v2, 0
	global_load_dwordx2 v[5:6], v2, s[2:3] offset:24 glc
	s_waitcnt vmcnt(0)
	buffer_wbinvl1_vol
	global_load_dwordx2 v[3:4], v2, s[2:3] offset:40
	global_load_dwordx2 v[7:8], v2, s[2:3]
	s_waitcnt vmcnt(1)
	v_and_b32_e32 v3, v3, v5
	v_and_b32_e32 v4, v4, v6
	v_mul_lo_u32 v4, v4, 24
	v_mul_hi_u32 v9, v3, 24
	v_mul_lo_u32 v3, v3, 24
	v_add_u32_e32 v4, v9, v4
	s_waitcnt vmcnt(0)
	v_add_co_u32_e32 v3, vcc, v7, v3
	v_addc_co_u32_e32 v4, vcc, v8, v4, vcc
	global_load_dwordx2 v[3:4], v[3:4], off glc
	s_waitcnt vmcnt(0)
	global_atomic_cmpswap_x2 v[8:9], v2, v[3:6], s[2:3] offset:24 glc
	s_waitcnt vmcnt(0)
	buffer_wbinvl1_vol
	v_cmp_ne_u64_e32 vcc, v[8:9], v[5:6]
	s_and_saveexec_b64 s[6:7], vcc
	s_cbranch_execz .LBB10_164
; %bb.161:
	s_mov_b64 s[8:9], 0
.LBB10_162:                             ; =>This Inner Loop Header: Depth=1
	s_sleep 1
	global_load_dwordx2 v[3:4], v2, s[2:3] offset:40
	global_load_dwordx2 v[10:11], v2, s[2:3]
	v_mov_b32_e32 v5, v8
	v_mov_b32_e32 v6, v9
	s_waitcnt vmcnt(1)
	v_and_b32_e32 v3, v3, v5
	s_waitcnt vmcnt(0)
	v_mad_u64_u32 v[7:8], s[10:11], v3, 24, v[10:11]
	v_and_b32_e32 v4, v4, v6
	v_mov_b32_e32 v3, v8
	v_mad_u64_u32 v[3:4], s[10:11], v4, 24, v[3:4]
	v_mov_b32_e32 v8, v3
	global_load_dwordx2 v[3:4], v[7:8], off glc
	s_waitcnt vmcnt(0)
	global_atomic_cmpswap_x2 v[8:9], v2, v[3:6], s[2:3] offset:24 glc
	s_waitcnt vmcnt(0)
	buffer_wbinvl1_vol
	v_cmp_eq_u64_e32 vcc, v[8:9], v[5:6]
	s_or_b64 s[8:9], vcc, s[8:9]
	s_andn2_b64 exec, exec, s[8:9]
	s_cbranch_execnz .LBB10_162
; %bb.163:
	s_or_b64 exec, exec, s[8:9]
.LBB10_164:
	s_or_b64 exec, exec, s[6:7]
.LBB10_165:
	s_or_b64 exec, exec, s[4:5]
	v_mov_b32_e32 v2, 0
	global_load_dwordx2 v[10:11], v2, s[2:3] offset:40
	global_load_dwordx4 v[4:7], v2, s[2:3]
	v_readfirstlane_b32 s5, v9
	v_readfirstlane_b32 s4, v8
	s_mov_b64 s[6:7], exec
	s_waitcnt vmcnt(1)
	v_readfirstlane_b32 s8, v10
	v_readfirstlane_b32 s9, v11
	s_and_b64 s[8:9], s[8:9], s[4:5]
	s_mul_i32 s10, s9, 24
	s_mul_hi_u32 s11, s8, 24
	s_mul_i32 s12, s8, 24
	s_add_i32 s10, s11, s10
	v_mov_b32_e32 v3, s10
	s_waitcnt vmcnt(0)
	v_add_co_u32_e32 v8, vcc, s12, v4
	v_addc_co_u32_e32 v9, vcc, v5, v3, vcc
	s_and_saveexec_b64 s[10:11], s[0:1]
	s_cbranch_execz .LBB10_167
; %bb.166:
	v_mov_b32_e32 v11, s7
	v_mov_b32_e32 v10, s6
	;; [unrolled: 1-line block ×4, first 2 shown]
	global_store_dwordx4 v[8:9], v[10:13], off offset:8
.LBB10_167:
	s_or_b64 exec, exec, s[10:11]
	s_lshl_b64 s[6:7], s[8:9], 12
	v_mov_b32_e32 v3, s7
	v_add_co_u32_e32 v10, vcc, s6, v6
	v_addc_co_u32_e32 v11, vcc, v7, v3, vcc
	s_movk_i32 s6, 0xff1f
	v_and_or_b32 v0, v0, s6, 32
	s_mov_b32 s8, 0
	v_mov_b32_e32 v3, v2
	v_readfirstlane_b32 s6, v10
	v_readfirstlane_b32 s7, v11
	v_add_co_u32_e32 v6, vcc, v10, v31
	s_mov_b32 s9, s8
	s_mov_b32 s10, s8
	;; [unrolled: 1-line block ×3, first 2 shown]
	s_nop 0
	global_store_dwordx4 v31, v[0:3], s[6:7]
	v_addc_co_u32_e32 v7, vcc, 0, v11, vcc
	v_mov_b32_e32 v0, s8
	v_mov_b32_e32 v1, s9
	;; [unrolled: 1-line block ×4, first 2 shown]
	global_store_dwordx4 v31, v[0:3], s[6:7] offset:16
	global_store_dwordx4 v31, v[0:3], s[6:7] offset:32
	;; [unrolled: 1-line block ×3, first 2 shown]
	s_and_saveexec_b64 s[6:7], s[0:1]
	s_cbranch_execz .LBB10_175
; %bb.168:
	v_mov_b32_e32 v10, 0
	global_load_dwordx2 v[13:14], v10, s[2:3] offset:32 glc
	global_load_dwordx2 v[0:1], v10, s[2:3] offset:40
	v_mov_b32_e32 v11, s4
	v_mov_b32_e32 v12, s5
	s_waitcnt vmcnt(0)
	v_readfirstlane_b32 s8, v0
	v_readfirstlane_b32 s9, v1
	s_and_b64 s[8:9], s[8:9], s[4:5]
	s_mul_i32 s9, s9, 24
	s_mul_hi_u32 s10, s8, 24
	s_mul_i32 s8, s8, 24
	s_add_i32 s9, s10, s9
	v_mov_b32_e32 v0, s9
	v_add_co_u32_e32 v4, vcc, s8, v4
	v_addc_co_u32_e32 v5, vcc, v5, v0, vcc
	global_store_dwordx2 v[4:5], v[13:14], off
	s_waitcnt vmcnt(0)
	global_atomic_cmpswap_x2 v[2:3], v10, v[11:14], s[2:3] offset:32 glc
	s_waitcnt vmcnt(0)
	v_cmp_ne_u64_e32 vcc, v[2:3], v[13:14]
	s_and_saveexec_b64 s[8:9], vcc
	s_cbranch_execz .LBB10_171
; %bb.169:
	s_mov_b64 s[10:11], 0
.LBB10_170:                             ; =>This Inner Loop Header: Depth=1
	s_sleep 1
	global_store_dwordx2 v[4:5], v[2:3], off
	v_mov_b32_e32 v0, s4
	v_mov_b32_e32 v1, s5
	s_waitcnt vmcnt(0)
	global_atomic_cmpswap_x2 v[0:1], v10, v[0:3], s[2:3] offset:32 glc
	s_waitcnt vmcnt(0)
	v_cmp_eq_u64_e32 vcc, v[0:1], v[2:3]
	v_mov_b32_e32 v3, v1
	s_or_b64 s[10:11], vcc, s[10:11]
	v_mov_b32_e32 v2, v0
	s_andn2_b64 exec, exec, s[10:11]
	s_cbranch_execnz .LBB10_170
.LBB10_171:
	s_or_b64 exec, exec, s[8:9]
	v_mov_b32_e32 v3, 0
	global_load_dwordx2 v[0:1], v3, s[2:3] offset:16
	s_mov_b64 s[8:9], exec
	v_mbcnt_lo_u32_b32 v2, s8, 0
	v_mbcnt_hi_u32_b32 v2, s9, v2
	v_cmp_eq_u32_e32 vcc, 0, v2
	s_and_saveexec_b64 s[10:11], vcc
	s_cbranch_execz .LBB10_173
; %bb.172:
	s_bcnt1_i32_b64 s8, s[8:9]
	v_mov_b32_e32 v2, s8
	s_waitcnt vmcnt(0)
	global_atomic_add_x2 v[0:1], v[2:3], off offset:8
.LBB10_173:
	s_or_b64 exec, exec, s[10:11]
	s_waitcnt vmcnt(0)
	global_load_dwordx2 v[2:3], v[0:1], off offset:16
	s_waitcnt vmcnt(0)
	v_cmp_eq_u64_e32 vcc, 0, v[2:3]
	s_cbranch_vccnz .LBB10_175
; %bb.174:
	global_load_dword v0, v[0:1], off offset:24
	v_mov_b32_e32 v1, 0
	s_waitcnt vmcnt(0)
	v_readfirstlane_b32 s8, v0
	s_and_b32 m0, s8, 0xffffff
	global_store_dwordx2 v[2:3], v[0:1], off
	s_sendmsg sendmsg(MSG_INTERRUPT)
.LBB10_175:
	s_or_b64 exec, exec, s[6:7]
	s_branch .LBB10_179
.LBB10_176:                             ;   in Loop: Header=BB10_179 Depth=1
	s_or_b64 exec, exec, s[6:7]
	v_readfirstlane_b32 s6, v0
	s_cmp_eq_u32 s6, 0
	s_cbranch_scc1 .LBB10_178
; %bb.177:                              ;   in Loop: Header=BB10_179 Depth=1
	s_sleep 1
	s_cbranch_execnz .LBB10_179
	s_branch .LBB10_181
.LBB10_178:
	s_branch .LBB10_181
.LBB10_179:                             ; =>This Inner Loop Header: Depth=1
	v_mov_b32_e32 v0, 1
	s_and_saveexec_b64 s[6:7], s[0:1]
	s_cbranch_execz .LBB10_176
; %bb.180:                              ;   in Loop: Header=BB10_179 Depth=1
	global_load_dword v0, v[8:9], off offset:20 glc
	s_waitcnt vmcnt(0)
	buffer_wbinvl1_vol
	v_and_b32_e32 v0, 1, v0
	s_branch .LBB10_176
.LBB10_181:
	global_load_dwordx2 v[4:5], v[6:7], off
	s_and_saveexec_b64 s[6:7], s[0:1]
	s_cbranch_execz .LBB10_184
; %bb.182:
	v_mov_b32_e32 v8, 0
	global_load_dwordx2 v[0:1], v8, s[2:3] offset:40
	global_load_dwordx2 v[11:12], v8, s[2:3] offset:24 glc
	global_load_dwordx2 v[2:3], v8, s[2:3]
	s_waitcnt vmcnt(2)
	v_readfirstlane_b32 s8, v0
	v_readfirstlane_b32 s9, v1
	s_add_u32 s10, s8, 1
	s_addc_u32 s11, s9, 0
	s_add_u32 s0, s10, s4
	s_addc_u32 s1, s11, s5
	s_cmp_eq_u64 s[0:1], 0
	s_cselect_b32 s1, s11, s1
	s_cselect_b32 s0, s10, s0
	s_and_b64 s[4:5], s[0:1], s[8:9]
	s_mul_i32 s5, s5, 24
	s_mul_hi_u32 s8, s4, 24
	s_mul_i32 s4, s4, 24
	s_add_i32 s5, s8, s5
	v_mov_b32_e32 v0, s5
	s_waitcnt vmcnt(0)
	v_add_co_u32_e32 v6, vcc, s4, v2
	v_addc_co_u32_e32 v7, vcc, v3, v0, vcc
	v_mov_b32_e32 v9, s0
	global_store_dwordx2 v[6:7], v[11:12], off
	v_mov_b32_e32 v10, s1
	s_waitcnt vmcnt(0)
	global_atomic_cmpswap_x2 v[2:3], v8, v[9:12], s[2:3] offset:24 glc
	s_mov_b64 s[4:5], 0
	s_waitcnt vmcnt(0)
	v_cmp_ne_u64_e32 vcc, v[2:3], v[11:12]
	s_and_b64 exec, exec, vcc
	s_cbranch_execz .LBB10_184
.LBB10_183:                             ; =>This Inner Loop Header: Depth=1
	s_sleep 1
	global_store_dwordx2 v[6:7], v[2:3], off
	v_mov_b32_e32 v0, s0
	v_mov_b32_e32 v1, s1
	s_waitcnt vmcnt(0)
	global_atomic_cmpswap_x2 v[0:1], v8, v[0:3], s[2:3] offset:24 glc
	s_waitcnt vmcnt(0)
	v_cmp_eq_u64_e32 vcc, v[0:1], v[2:3]
	v_mov_b32_e32 v3, v1
	s_or_b64 s[4:5], vcc, s[4:5]
	v_mov_b32_e32 v2, v0
	s_andn2_b64 exec, exec, s[4:5]
	s_cbranch_execnz .LBB10_183
.LBB10_184:
	s_or_b64 exec, exec, s[6:7]
.LBB10_185:
	s_getpc_b64 s[4:5]
	s_add_u32 s4, s4, .str.1@rel32@lo+4
	s_addc_u32 s5, s5, .str.1@rel32@hi+12
	s_cmp_lg_u64 s[4:5], 0
	s_cbranch_scc0 .LBB10_270
; %bb.186:
	s_waitcnt vmcnt(0)
	v_and_b32_e32 v29, 2, v4
	v_mov_b32_e32 v26, 0
	v_and_b32_e32 v0, -3, v4
	v_mov_b32_e32 v1, v5
	s_mov_b64 s[6:7], 0x61
	v_mov_b32_e32 v8, 2
	v_mov_b32_e32 v9, 1
	s_branch .LBB10_188
.LBB10_187:                             ;   in Loop: Header=BB10_188 Depth=1
	s_or_b64 exec, exec, s[12:13]
	s_sub_u32 s6, s6, s8
	s_subb_u32 s7, s7, s9
	s_add_u32 s4, s4, s8
	s_addc_u32 s5, s5, s9
	s_cmp_lg_u64 s[6:7], 0
	s_cbranch_scc0 .LBB10_271
.LBB10_188:                             ; =>This Loop Header: Depth=1
                                        ;     Child Loop BB10_191 Depth 2
                                        ;     Child Loop BB10_199 Depth 2
	;; [unrolled: 1-line block ×11, first 2 shown]
	v_cmp_lt_u64_e64 s[0:1], s[6:7], 56
	v_cmp_gt_u64_e64 s[10:11], s[6:7], 7
	s_and_b64 s[0:1], s[0:1], exec
	s_cselect_b32 s9, s7, 0
	s_cselect_b32 s8, s6, 56
	s_add_u32 s0, s4, 8
	s_addc_u32 s1, s5, 0
	s_and_b64 vcc, exec, s[10:11]
	s_cbranch_vccnz .LBB10_192
; %bb.189:                              ;   in Loop: Header=BB10_188 Depth=1
	s_cmp_eq_u64 s[6:7], 0
	s_cbranch_scc1 .LBB10_193
; %bb.190:                              ;   in Loop: Header=BB10_188 Depth=1
	v_mov_b32_e32 v2, 0
	s_lshl_b64 s[0:1], s[8:9], 3
	s_mov_b64 s[10:11], 0
	v_mov_b32_e32 v3, 0
	s_mov_b64 s[12:13], s[4:5]
.LBB10_191:                             ;   Parent Loop BB10_188 Depth=1
                                        ; =>  This Inner Loop Header: Depth=2
	global_load_ubyte v6, v26, s[12:13]
	s_waitcnt vmcnt(0)
	v_and_b32_e32 v25, 0xffff, v6
	v_lshlrev_b64 v[6:7], s10, v[25:26]
	s_add_u32 s10, s10, 8
	s_addc_u32 s11, s11, 0
	s_add_u32 s12, s12, 1
	s_addc_u32 s13, s13, 0
	v_or_b32_e32 v2, v6, v2
	s_cmp_lg_u32 s0, s10
	v_or_b32_e32 v3, v7, v3
	s_cbranch_scc1 .LBB10_191
	s_branch .LBB10_194
.LBB10_192:                             ;   in Loop: Header=BB10_188 Depth=1
	s_mov_b32 s14, 0
	s_branch .LBB10_195
.LBB10_193:                             ;   in Loop: Header=BB10_188 Depth=1
	v_mov_b32_e32 v2, 0
	v_mov_b32_e32 v3, 0
.LBB10_194:                             ;   in Loop: Header=BB10_188 Depth=1
	s_mov_b64 s[0:1], s[4:5]
	s_mov_b32 s14, 0
	s_cbranch_execnz .LBB10_196
.LBB10_195:                             ;   in Loop: Header=BB10_188 Depth=1
	global_load_dwordx2 v[2:3], v26, s[4:5]
	s_add_i32 s14, s8, -8
.LBB10_196:                             ;   in Loop: Header=BB10_188 Depth=1
	s_add_u32 s10, s0, 8
	s_addc_u32 s11, s1, 0
	s_cmp_gt_u32 s14, 7
	s_cbranch_scc1 .LBB10_200
; %bb.197:                              ;   in Loop: Header=BB10_188 Depth=1
	s_cmp_eq_u32 s14, 0
	s_cbranch_scc1 .LBB10_201
; %bb.198:                              ;   in Loop: Header=BB10_188 Depth=1
	v_mov_b32_e32 v10, 0
	s_mov_b64 s[10:11], 0
	v_mov_b32_e32 v11, 0
	s_mov_b64 s[12:13], 0
.LBB10_199:                             ;   Parent Loop BB10_188 Depth=1
                                        ; =>  This Inner Loop Header: Depth=2
	s_add_u32 s16, s0, s12
	s_addc_u32 s17, s1, s13
	global_load_ubyte v6, v26, s[16:17]
	s_add_u32 s12, s12, 1
	s_addc_u32 s13, s13, 0
	s_waitcnt vmcnt(0)
	v_and_b32_e32 v25, 0xffff, v6
	v_lshlrev_b64 v[6:7], s10, v[25:26]
	s_add_u32 s10, s10, 8
	s_addc_u32 s11, s11, 0
	v_or_b32_e32 v10, v6, v10
	s_cmp_lg_u32 s14, s12
	v_or_b32_e32 v11, v7, v11
	s_cbranch_scc1 .LBB10_199
	s_branch .LBB10_202
.LBB10_200:                             ;   in Loop: Header=BB10_188 Depth=1
                                        ; implicit-def: $vgpr10_vgpr11
	s_mov_b32 s15, 0
	s_branch .LBB10_203
.LBB10_201:                             ;   in Loop: Header=BB10_188 Depth=1
	v_mov_b32_e32 v10, 0
	v_mov_b32_e32 v11, 0
.LBB10_202:                             ;   in Loop: Header=BB10_188 Depth=1
	s_mov_b64 s[10:11], s[0:1]
	s_mov_b32 s15, 0
	s_cbranch_execnz .LBB10_204
.LBB10_203:                             ;   in Loop: Header=BB10_188 Depth=1
	global_load_dwordx2 v[10:11], v26, s[0:1]
	s_add_i32 s15, s14, -8
.LBB10_204:                             ;   in Loop: Header=BB10_188 Depth=1
	s_add_u32 s0, s10, 8
	s_addc_u32 s1, s11, 0
	s_cmp_gt_u32 s15, 7
	s_cbranch_scc1 .LBB10_208
; %bb.205:                              ;   in Loop: Header=BB10_188 Depth=1
	s_cmp_eq_u32 s15, 0
	s_cbranch_scc1 .LBB10_209
; %bb.206:                              ;   in Loop: Header=BB10_188 Depth=1
	v_mov_b32_e32 v12, 0
	s_mov_b64 s[0:1], 0
	v_mov_b32_e32 v13, 0
	s_mov_b64 s[12:13], 0
.LBB10_207:                             ;   Parent Loop BB10_188 Depth=1
                                        ; =>  This Inner Loop Header: Depth=2
	s_add_u32 s16, s10, s12
	s_addc_u32 s17, s11, s13
	global_load_ubyte v6, v26, s[16:17]
	s_add_u32 s12, s12, 1
	s_addc_u32 s13, s13, 0
	s_waitcnt vmcnt(0)
	v_and_b32_e32 v25, 0xffff, v6
	v_lshlrev_b64 v[6:7], s0, v[25:26]
	s_add_u32 s0, s0, 8
	s_addc_u32 s1, s1, 0
	v_or_b32_e32 v12, v6, v12
	s_cmp_lg_u32 s15, s12
	v_or_b32_e32 v13, v7, v13
	s_cbranch_scc1 .LBB10_207
	s_branch .LBB10_210
.LBB10_208:                             ;   in Loop: Header=BB10_188 Depth=1
	s_mov_b32 s14, 0
	s_branch .LBB10_211
.LBB10_209:                             ;   in Loop: Header=BB10_188 Depth=1
	v_mov_b32_e32 v12, 0
	v_mov_b32_e32 v13, 0
.LBB10_210:                             ;   in Loop: Header=BB10_188 Depth=1
	s_mov_b64 s[0:1], s[10:11]
	s_mov_b32 s14, 0
	s_cbranch_execnz .LBB10_212
.LBB10_211:                             ;   in Loop: Header=BB10_188 Depth=1
	global_load_dwordx2 v[12:13], v26, s[10:11]
	s_add_i32 s14, s15, -8
.LBB10_212:                             ;   in Loop: Header=BB10_188 Depth=1
	s_add_u32 s10, s0, 8
	s_addc_u32 s11, s1, 0
	s_cmp_gt_u32 s14, 7
	s_cbranch_scc1 .LBB10_216
; %bb.213:                              ;   in Loop: Header=BB10_188 Depth=1
	s_cmp_eq_u32 s14, 0
	s_cbranch_scc1 .LBB10_217
; %bb.214:                              ;   in Loop: Header=BB10_188 Depth=1
	v_mov_b32_e32 v14, 0
	s_mov_b64 s[10:11], 0
	v_mov_b32_e32 v15, 0
	s_mov_b64 s[12:13], 0
.LBB10_215:                             ;   Parent Loop BB10_188 Depth=1
                                        ; =>  This Inner Loop Header: Depth=2
	s_add_u32 s16, s0, s12
	s_addc_u32 s17, s1, s13
	global_load_ubyte v6, v26, s[16:17]
	s_add_u32 s12, s12, 1
	s_addc_u32 s13, s13, 0
	s_waitcnt vmcnt(0)
	v_and_b32_e32 v25, 0xffff, v6
	v_lshlrev_b64 v[6:7], s10, v[25:26]
	s_add_u32 s10, s10, 8
	s_addc_u32 s11, s11, 0
	v_or_b32_e32 v14, v6, v14
	s_cmp_lg_u32 s14, s12
	v_or_b32_e32 v15, v7, v15
	s_cbranch_scc1 .LBB10_215
	s_branch .LBB10_218
.LBB10_216:                             ;   in Loop: Header=BB10_188 Depth=1
                                        ; implicit-def: $vgpr14_vgpr15
	s_mov_b32 s15, 0
	s_branch .LBB10_219
.LBB10_217:                             ;   in Loop: Header=BB10_188 Depth=1
	v_mov_b32_e32 v14, 0
	v_mov_b32_e32 v15, 0
.LBB10_218:                             ;   in Loop: Header=BB10_188 Depth=1
	s_mov_b64 s[10:11], s[0:1]
	s_mov_b32 s15, 0
	s_cbranch_execnz .LBB10_220
.LBB10_219:                             ;   in Loop: Header=BB10_188 Depth=1
	global_load_dwordx2 v[14:15], v26, s[0:1]
	s_add_i32 s15, s14, -8
.LBB10_220:                             ;   in Loop: Header=BB10_188 Depth=1
	s_add_u32 s0, s10, 8
	s_addc_u32 s1, s11, 0
	s_cmp_gt_u32 s15, 7
	s_cbranch_scc1 .LBB10_224
; %bb.221:                              ;   in Loop: Header=BB10_188 Depth=1
	s_cmp_eq_u32 s15, 0
	s_cbranch_scc1 .LBB10_225
; %bb.222:                              ;   in Loop: Header=BB10_188 Depth=1
	v_mov_b32_e32 v16, 0
	s_mov_b64 s[0:1], 0
	v_mov_b32_e32 v17, 0
	s_mov_b64 s[12:13], 0
.LBB10_223:                             ;   Parent Loop BB10_188 Depth=1
                                        ; =>  This Inner Loop Header: Depth=2
	s_add_u32 s16, s10, s12
	s_addc_u32 s17, s11, s13
	global_load_ubyte v6, v26, s[16:17]
	s_add_u32 s12, s12, 1
	s_addc_u32 s13, s13, 0
	s_waitcnt vmcnt(0)
	v_and_b32_e32 v25, 0xffff, v6
	v_lshlrev_b64 v[6:7], s0, v[25:26]
	s_add_u32 s0, s0, 8
	s_addc_u32 s1, s1, 0
	v_or_b32_e32 v16, v6, v16
	s_cmp_lg_u32 s15, s12
	v_or_b32_e32 v17, v7, v17
	s_cbranch_scc1 .LBB10_223
	s_branch .LBB10_226
.LBB10_224:                             ;   in Loop: Header=BB10_188 Depth=1
	s_mov_b32 s14, 0
	s_branch .LBB10_227
.LBB10_225:                             ;   in Loop: Header=BB10_188 Depth=1
	v_mov_b32_e32 v16, 0
	v_mov_b32_e32 v17, 0
.LBB10_226:                             ;   in Loop: Header=BB10_188 Depth=1
	s_mov_b64 s[0:1], s[10:11]
	s_mov_b32 s14, 0
	s_cbranch_execnz .LBB10_228
.LBB10_227:                             ;   in Loop: Header=BB10_188 Depth=1
	global_load_dwordx2 v[16:17], v26, s[10:11]
	s_add_i32 s14, s15, -8
.LBB10_228:                             ;   in Loop: Header=BB10_188 Depth=1
	s_add_u32 s10, s0, 8
	s_addc_u32 s11, s1, 0
	s_cmp_gt_u32 s14, 7
	s_cbranch_scc1 .LBB10_232
; %bb.229:                              ;   in Loop: Header=BB10_188 Depth=1
	s_cmp_eq_u32 s14, 0
	s_cbranch_scc1 .LBB10_233
; %bb.230:                              ;   in Loop: Header=BB10_188 Depth=1
	v_mov_b32_e32 v18, 0
	s_mov_b64 s[10:11], 0
	v_mov_b32_e32 v19, 0
	s_mov_b64 s[12:13], 0
.LBB10_231:                             ;   Parent Loop BB10_188 Depth=1
                                        ; =>  This Inner Loop Header: Depth=2
	s_add_u32 s16, s0, s12
	s_addc_u32 s17, s1, s13
	global_load_ubyte v6, v26, s[16:17]
	s_add_u32 s12, s12, 1
	s_addc_u32 s13, s13, 0
	s_waitcnt vmcnt(0)
	v_and_b32_e32 v25, 0xffff, v6
	v_lshlrev_b64 v[6:7], s10, v[25:26]
	s_add_u32 s10, s10, 8
	s_addc_u32 s11, s11, 0
	v_or_b32_e32 v18, v6, v18
	s_cmp_lg_u32 s14, s12
	v_or_b32_e32 v19, v7, v19
	s_cbranch_scc1 .LBB10_231
	s_branch .LBB10_234
.LBB10_232:                             ;   in Loop: Header=BB10_188 Depth=1
                                        ; implicit-def: $vgpr18_vgpr19
	s_mov_b32 s15, 0
	s_branch .LBB10_235
.LBB10_233:                             ;   in Loop: Header=BB10_188 Depth=1
	v_mov_b32_e32 v18, 0
	v_mov_b32_e32 v19, 0
.LBB10_234:                             ;   in Loop: Header=BB10_188 Depth=1
	s_mov_b64 s[10:11], s[0:1]
	s_mov_b32 s15, 0
	s_cbranch_execnz .LBB10_236
.LBB10_235:                             ;   in Loop: Header=BB10_188 Depth=1
	global_load_dwordx2 v[18:19], v26, s[0:1]
	s_add_i32 s15, s14, -8
.LBB10_236:                             ;   in Loop: Header=BB10_188 Depth=1
	s_cmp_gt_u32 s15, 7
	s_cbranch_scc1 .LBB10_240
; %bb.237:                              ;   in Loop: Header=BB10_188 Depth=1
	s_cmp_eq_u32 s15, 0
	s_cbranch_scc1 .LBB10_241
; %bb.238:                              ;   in Loop: Header=BB10_188 Depth=1
	v_mov_b32_e32 v20, 0
	s_mov_b64 s[0:1], 0
	v_mov_b32_e32 v21, 0
	s_mov_b64 s[12:13], s[10:11]
.LBB10_239:                             ;   Parent Loop BB10_188 Depth=1
                                        ; =>  This Inner Loop Header: Depth=2
	global_load_ubyte v6, v26, s[12:13]
	s_add_i32 s15, s15, -1
	s_waitcnt vmcnt(0)
	v_and_b32_e32 v25, 0xffff, v6
	v_lshlrev_b64 v[6:7], s0, v[25:26]
	s_add_u32 s0, s0, 8
	s_addc_u32 s1, s1, 0
	s_add_u32 s12, s12, 1
	s_addc_u32 s13, s13, 0
	v_or_b32_e32 v20, v6, v20
	s_cmp_lg_u32 s15, 0
	v_or_b32_e32 v21, v7, v21
	s_cbranch_scc1 .LBB10_239
	s_branch .LBB10_242
.LBB10_240:                             ;   in Loop: Header=BB10_188 Depth=1
	s_branch .LBB10_243
.LBB10_241:                             ;   in Loop: Header=BB10_188 Depth=1
	v_mov_b32_e32 v20, 0
	v_mov_b32_e32 v21, 0
.LBB10_242:                             ;   in Loop: Header=BB10_188 Depth=1
	s_cbranch_execnz .LBB10_244
.LBB10_243:                             ;   in Loop: Header=BB10_188 Depth=1
	global_load_dwordx2 v[20:21], v26, s[10:11]
.LBB10_244:                             ;   in Loop: Header=BB10_188 Depth=1
	v_readfirstlane_b32 s0, v32
	v_mov_b32_e32 v6, 0
	v_mov_b32_e32 v7, 0
	v_cmp_eq_u32_e64 s[0:1], s0, v32
	s_and_saveexec_b64 s[10:11], s[0:1]
	s_cbranch_execz .LBB10_250
; %bb.245:                              ;   in Loop: Header=BB10_188 Depth=1
	global_load_dwordx2 v[24:25], v26, s[2:3] offset:24 glc
	s_waitcnt vmcnt(0)
	buffer_wbinvl1_vol
	global_load_dwordx2 v[6:7], v26, s[2:3] offset:40
	global_load_dwordx2 v[22:23], v26, s[2:3]
	s_waitcnt vmcnt(1)
	v_and_b32_e32 v6, v6, v24
	v_and_b32_e32 v7, v7, v25
	v_mul_lo_u32 v7, v7, 24
	v_mul_hi_u32 v27, v6, 24
	v_mul_lo_u32 v6, v6, 24
	v_add_u32_e32 v7, v27, v7
	s_waitcnt vmcnt(0)
	v_add_co_u32_e32 v6, vcc, v22, v6
	v_addc_co_u32_e32 v7, vcc, v23, v7, vcc
	global_load_dwordx2 v[22:23], v[6:7], off glc
	s_waitcnt vmcnt(0)
	global_atomic_cmpswap_x2 v[6:7], v26, v[22:25], s[2:3] offset:24 glc
	s_waitcnt vmcnt(0)
	buffer_wbinvl1_vol
	v_cmp_ne_u64_e32 vcc, v[6:7], v[24:25]
	s_and_saveexec_b64 s[12:13], vcc
	s_cbranch_execz .LBB10_249
; %bb.246:                              ;   in Loop: Header=BB10_188 Depth=1
	s_mov_b64 s[14:15], 0
.LBB10_247:                             ;   Parent Loop BB10_188 Depth=1
                                        ; =>  This Inner Loop Header: Depth=2
	s_sleep 1
	global_load_dwordx2 v[22:23], v26, s[2:3] offset:40
	global_load_dwordx2 v[27:28], v26, s[2:3]
	v_mov_b32_e32 v25, v7
	v_mov_b32_e32 v24, v6
	s_waitcnt vmcnt(1)
	v_and_b32_e32 v6, v22, v24
	s_waitcnt vmcnt(0)
	v_mad_u64_u32 v[6:7], s[16:17], v6, 24, v[27:28]
	v_and_b32_e32 v22, v23, v25
	v_mad_u64_u32 v[22:23], s[16:17], v22, 24, v[7:8]
	v_mov_b32_e32 v7, v22
	global_load_dwordx2 v[22:23], v[6:7], off glc
	s_waitcnt vmcnt(0)
	global_atomic_cmpswap_x2 v[6:7], v26, v[22:25], s[2:3] offset:24 glc
	s_waitcnt vmcnt(0)
	buffer_wbinvl1_vol
	v_cmp_eq_u64_e32 vcc, v[6:7], v[24:25]
	s_or_b64 s[14:15], vcc, s[14:15]
	s_andn2_b64 exec, exec, s[14:15]
	s_cbranch_execnz .LBB10_247
; %bb.248:                              ;   in Loop: Header=BB10_188 Depth=1
	s_or_b64 exec, exec, s[14:15]
.LBB10_249:                             ;   in Loop: Header=BB10_188 Depth=1
	s_or_b64 exec, exec, s[12:13]
.LBB10_250:                             ;   in Loop: Header=BB10_188 Depth=1
	s_or_b64 exec, exec, s[10:11]
	global_load_dwordx2 v[27:28], v26, s[2:3] offset:40
	global_load_dwordx4 v[22:25], v26, s[2:3]
	v_readfirstlane_b32 s11, v7
	v_readfirstlane_b32 s10, v6
	s_mov_b64 s[12:13], exec
	s_waitcnt vmcnt(1)
	v_readfirstlane_b32 s14, v27
	v_readfirstlane_b32 s15, v28
	s_and_b64 s[14:15], s[14:15], s[10:11]
	s_mul_i32 s16, s15, 24
	s_mul_hi_u32 s17, s14, 24
	s_mul_i32 s18, s14, 24
	s_add_i32 s16, s17, s16
	v_mov_b32_e32 v6, s16
	s_waitcnt vmcnt(0)
	v_add_co_u32_e32 v27, vcc, s18, v22
	v_addc_co_u32_e32 v28, vcc, v23, v6, vcc
	s_and_saveexec_b64 s[16:17], s[0:1]
	s_cbranch_execz .LBB10_252
; %bb.251:                              ;   in Loop: Header=BB10_188 Depth=1
	v_mov_b32_e32 v6, s12
	v_mov_b32_e32 v7, s13
	global_store_dwordx4 v[27:28], v[6:9], off offset:8
.LBB10_252:                             ;   in Loop: Header=BB10_188 Depth=1
	s_or_b64 exec, exec, s[16:17]
	s_lshl_b64 s[12:13], s[14:15], 12
	v_mov_b32_e32 v6, s13
	v_add_co_u32_e32 v24, vcc, s12, v24
	v_addc_co_u32_e32 v30, vcc, v25, v6, vcc
	v_cmp_lt_u64_e64 vcc, s[6:7], 57
	s_lshl_b32 s12, s8, 2
	v_cndmask_b32_e32 v6, 0, v29, vcc
	s_add_i32 s12, s12, 28
	v_and_b32_e32 v0, 0xffffff1f, v0
	s_and_b32 s12, s12, 0x1e0
	v_or_b32_e32 v0, v0, v6
	v_or_b32_e32 v0, s12, v0
	v_readfirstlane_b32 s12, v24
	v_readfirstlane_b32 s13, v30
	s_nop 4
	global_store_dwordx4 v31, v[0:3], s[12:13]
	global_store_dwordx4 v31, v[10:13], s[12:13] offset:16
	global_store_dwordx4 v31, v[14:17], s[12:13] offset:32
	;; [unrolled: 1-line block ×3, first 2 shown]
	s_and_saveexec_b64 s[12:13], s[0:1]
	s_cbranch_execz .LBB10_260
; %bb.253:                              ;   in Loop: Header=BB10_188 Depth=1
	global_load_dwordx2 v[12:13], v26, s[2:3] offset:32 glc
	global_load_dwordx2 v[0:1], v26, s[2:3] offset:40
	v_mov_b32_e32 v10, s10
	v_mov_b32_e32 v11, s11
	s_waitcnt vmcnt(0)
	v_readfirstlane_b32 s14, v0
	v_readfirstlane_b32 s15, v1
	s_and_b64 s[14:15], s[14:15], s[10:11]
	s_mul_i32 s15, s15, 24
	s_mul_hi_u32 s16, s14, 24
	s_mul_i32 s14, s14, 24
	s_add_i32 s15, s16, s15
	v_mov_b32_e32 v0, s15
	v_add_co_u32_e32 v6, vcc, s14, v22
	v_addc_co_u32_e32 v7, vcc, v23, v0, vcc
	global_store_dwordx2 v[6:7], v[12:13], off
	s_waitcnt vmcnt(0)
	global_atomic_cmpswap_x2 v[2:3], v26, v[10:13], s[2:3] offset:32 glc
	s_waitcnt vmcnt(0)
	v_cmp_ne_u64_e32 vcc, v[2:3], v[12:13]
	s_and_saveexec_b64 s[14:15], vcc
	s_cbranch_execz .LBB10_256
; %bb.254:                              ;   in Loop: Header=BB10_188 Depth=1
	s_mov_b64 s[16:17], 0
.LBB10_255:                             ;   Parent Loop BB10_188 Depth=1
                                        ; =>  This Inner Loop Header: Depth=2
	s_sleep 1
	global_store_dwordx2 v[6:7], v[2:3], off
	v_mov_b32_e32 v0, s10
	v_mov_b32_e32 v1, s11
	s_waitcnt vmcnt(0)
	global_atomic_cmpswap_x2 v[0:1], v26, v[0:3], s[2:3] offset:32 glc
	s_waitcnt vmcnt(0)
	v_cmp_eq_u64_e32 vcc, v[0:1], v[2:3]
	v_mov_b32_e32 v3, v1
	s_or_b64 s[16:17], vcc, s[16:17]
	v_mov_b32_e32 v2, v0
	s_andn2_b64 exec, exec, s[16:17]
	s_cbranch_execnz .LBB10_255
.LBB10_256:                             ;   in Loop: Header=BB10_188 Depth=1
	s_or_b64 exec, exec, s[14:15]
	global_load_dwordx2 v[0:1], v26, s[2:3] offset:16
	s_mov_b64 s[16:17], exec
	v_mbcnt_lo_u32_b32 v2, s16, 0
	v_mbcnt_hi_u32_b32 v2, s17, v2
	v_cmp_eq_u32_e32 vcc, 0, v2
	s_and_saveexec_b64 s[14:15], vcc
	s_cbranch_execz .LBB10_258
; %bb.257:                              ;   in Loop: Header=BB10_188 Depth=1
	s_bcnt1_i32_b64 s16, s[16:17]
	v_mov_b32_e32 v25, s16
	s_waitcnt vmcnt(0)
	global_atomic_add_x2 v[0:1], v[25:26], off offset:8
.LBB10_258:                             ;   in Loop: Header=BB10_188 Depth=1
	s_or_b64 exec, exec, s[14:15]
	s_waitcnt vmcnt(0)
	global_load_dwordx2 v[2:3], v[0:1], off offset:16
	s_waitcnt vmcnt(0)
	v_cmp_eq_u64_e32 vcc, 0, v[2:3]
	s_cbranch_vccnz .LBB10_260
; %bb.259:                              ;   in Loop: Header=BB10_188 Depth=1
	global_load_dword v25, v[0:1], off offset:24
	s_waitcnt vmcnt(0)
	v_readfirstlane_b32 s14, v25
	s_and_b32 m0, s14, 0xffffff
	global_store_dwordx2 v[2:3], v[25:26], off
	s_sendmsg sendmsg(MSG_INTERRUPT)
.LBB10_260:                             ;   in Loop: Header=BB10_188 Depth=1
	s_or_b64 exec, exec, s[12:13]
	v_add_co_u32_e32 v0, vcc, v24, v31
	v_addc_co_u32_e32 v1, vcc, 0, v30, vcc
	s_branch .LBB10_264
.LBB10_261:                             ;   in Loop: Header=BB10_264 Depth=2
	s_or_b64 exec, exec, s[12:13]
	v_readfirstlane_b32 s12, v2
	s_cmp_eq_u32 s12, 0
	s_cbranch_scc1 .LBB10_263
; %bb.262:                              ;   in Loop: Header=BB10_264 Depth=2
	s_sleep 1
	s_cbranch_execnz .LBB10_264
	s_branch .LBB10_266
.LBB10_263:                             ;   in Loop: Header=BB10_188 Depth=1
	s_branch .LBB10_266
.LBB10_264:                             ;   Parent Loop BB10_188 Depth=1
                                        ; =>  This Inner Loop Header: Depth=2
	v_mov_b32_e32 v2, 1
	s_and_saveexec_b64 s[12:13], s[0:1]
	s_cbranch_execz .LBB10_261
; %bb.265:                              ;   in Loop: Header=BB10_264 Depth=2
	global_load_dword v2, v[27:28], off offset:20 glc
	s_waitcnt vmcnt(0)
	buffer_wbinvl1_vol
	v_and_b32_e32 v2, 1, v2
	s_branch .LBB10_261
.LBB10_266:                             ;   in Loop: Header=BB10_188 Depth=1
	global_load_dwordx2 v[0:1], v[0:1], off
	s_and_saveexec_b64 s[12:13], s[0:1]
	s_cbranch_execz .LBB10_187
; %bb.267:                              ;   in Loop: Header=BB10_188 Depth=1
	global_load_dwordx2 v[2:3], v26, s[2:3] offset:40
	global_load_dwordx2 v[14:15], v26, s[2:3] offset:24 glc
	global_load_dwordx2 v[6:7], v26, s[2:3]
	s_waitcnt vmcnt(2)
	v_readfirstlane_b32 s14, v2
	v_readfirstlane_b32 s15, v3
	s_add_u32 s16, s14, 1
	s_addc_u32 s17, s15, 0
	s_add_u32 s0, s16, s10
	s_addc_u32 s1, s17, s11
	s_cmp_eq_u64 s[0:1], 0
	s_cselect_b32 s1, s17, s1
	s_cselect_b32 s0, s16, s0
	s_and_b64 s[10:11], s[0:1], s[14:15]
	s_mul_i32 s11, s11, 24
	s_mul_hi_u32 s14, s10, 24
	s_mul_i32 s10, s10, 24
	s_add_i32 s11, s14, s11
	v_mov_b32_e32 v3, s11
	s_waitcnt vmcnt(0)
	v_add_co_u32_e32 v2, vcc, s10, v6
	v_addc_co_u32_e32 v3, vcc, v7, v3, vcc
	v_mov_b32_e32 v12, s0
	global_store_dwordx2 v[2:3], v[14:15], off
	v_mov_b32_e32 v13, s1
	s_waitcnt vmcnt(0)
	global_atomic_cmpswap_x2 v[12:13], v26, v[12:15], s[2:3] offset:24 glc
	s_waitcnt vmcnt(0)
	v_cmp_ne_u64_e32 vcc, v[12:13], v[14:15]
	s_and_b64 exec, exec, vcc
	s_cbranch_execz .LBB10_187
; %bb.268:                              ;   in Loop: Header=BB10_188 Depth=1
	s_mov_b64 s[10:11], 0
.LBB10_269:                             ;   Parent Loop BB10_188 Depth=1
                                        ; =>  This Inner Loop Header: Depth=2
	s_sleep 1
	global_store_dwordx2 v[2:3], v[12:13], off
	v_mov_b32_e32 v10, s0
	v_mov_b32_e32 v11, s1
	s_waitcnt vmcnt(0)
	global_atomic_cmpswap_x2 v[6:7], v26, v[10:13], s[2:3] offset:24 glc
	s_waitcnt vmcnt(0)
	v_cmp_eq_u64_e32 vcc, v[6:7], v[12:13]
	v_mov_b32_e32 v13, v7
	s_or_b64 s[10:11], vcc, s[10:11]
	v_mov_b32_e32 v12, v6
	s_andn2_b64 exec, exec, s[10:11]
	s_cbranch_execnz .LBB10_269
	s_branch .LBB10_187
.LBB10_270:
	s_mov_b64 s[0:1], -1
                                        ; implicit-def: $vgpr0_vgpr1
	s_branch .LBB10_272
.LBB10_271:
	s_mov_b64 s[0:1], 0
.LBB10_272:
	s_and_b64 vcc, exec, s[0:1]
	s_cbranch_vccz .LBB10_299
; %bb.273:
	v_readfirstlane_b32 s0, v32
	v_mov_b32_e32 v7, 0
	v_mov_b32_e32 v8, 0
	v_cmp_eq_u32_e64 s[0:1], s0, v32
	s_and_saveexec_b64 s[4:5], s[0:1]
	s_cbranch_execz .LBB10_279
; %bb.274:
	s_waitcnt vmcnt(0)
	v_mov_b32_e32 v0, 0
	global_load_dwordx2 v[9:10], v0, s[2:3] offset:24 glc
	s_waitcnt vmcnt(0)
	buffer_wbinvl1_vol
	global_load_dwordx2 v[1:2], v0, s[2:3] offset:40
	global_load_dwordx2 v[6:7], v0, s[2:3]
	s_waitcnt vmcnt(1)
	v_and_b32_e32 v1, v1, v9
	v_and_b32_e32 v2, v2, v10
	v_mul_lo_u32 v2, v2, 24
	v_mul_hi_u32 v3, v1, 24
	v_mul_lo_u32 v1, v1, 24
	v_add_u32_e32 v2, v3, v2
	s_waitcnt vmcnt(0)
	v_add_co_u32_e32 v1, vcc, v6, v1
	v_addc_co_u32_e32 v2, vcc, v7, v2, vcc
	global_load_dwordx2 v[7:8], v[1:2], off glc
	s_waitcnt vmcnt(0)
	global_atomic_cmpswap_x2 v[7:8], v0, v[7:10], s[2:3] offset:24 glc
	s_waitcnt vmcnt(0)
	buffer_wbinvl1_vol
	v_cmp_ne_u64_e32 vcc, v[7:8], v[9:10]
	s_and_saveexec_b64 s[6:7], vcc
	s_cbranch_execz .LBB10_278
; %bb.275:
	s_mov_b64 s[8:9], 0
.LBB10_276:                             ; =>This Inner Loop Header: Depth=1
	s_sleep 1
	global_load_dwordx2 v[1:2], v0, s[2:3] offset:40
	global_load_dwordx2 v[11:12], v0, s[2:3]
	v_mov_b32_e32 v10, v8
	v_mov_b32_e32 v9, v7
	s_waitcnt vmcnt(1)
	v_and_b32_e32 v1, v1, v9
	s_waitcnt vmcnt(0)
	v_mad_u64_u32 v[6:7], s[10:11], v1, 24, v[11:12]
	v_and_b32_e32 v2, v2, v10
	v_mov_b32_e32 v1, v7
	v_mad_u64_u32 v[1:2], s[10:11], v2, 24, v[1:2]
	v_mov_b32_e32 v7, v1
	global_load_dwordx2 v[7:8], v[6:7], off glc
	s_waitcnt vmcnt(0)
	global_atomic_cmpswap_x2 v[7:8], v0, v[7:10], s[2:3] offset:24 glc
	s_waitcnt vmcnt(0)
	buffer_wbinvl1_vol
	v_cmp_eq_u64_e32 vcc, v[7:8], v[9:10]
	s_or_b64 s[8:9], vcc, s[8:9]
	s_andn2_b64 exec, exec, s[8:9]
	s_cbranch_execnz .LBB10_276
; %bb.277:
	s_or_b64 exec, exec, s[8:9]
.LBB10_278:
	s_or_b64 exec, exec, s[6:7]
.LBB10_279:
	s_or_b64 exec, exec, s[4:5]
	v_mov_b32_e32 v6, 0
	global_load_dwordx2 v[9:10], v6, s[2:3] offset:40
	global_load_dwordx4 v[0:3], v6, s[2:3]
	v_readfirstlane_b32 s5, v8
	v_readfirstlane_b32 s4, v7
	s_mov_b64 s[6:7], exec
	s_waitcnt vmcnt(1)
	v_readfirstlane_b32 s8, v9
	v_readfirstlane_b32 s9, v10
	s_and_b64 s[8:9], s[8:9], s[4:5]
	s_mul_i32 s10, s9, 24
	s_mul_hi_u32 s11, s8, 24
	s_mul_i32 s12, s8, 24
	s_add_i32 s10, s11, s10
	v_mov_b32_e32 v7, s10
	s_waitcnt vmcnt(0)
	v_add_co_u32_e32 v8, vcc, s12, v0
	v_addc_co_u32_e32 v9, vcc, v1, v7, vcc
	s_and_saveexec_b64 s[10:11], s[0:1]
	s_cbranch_execz .LBB10_281
; %bb.280:
	v_mov_b32_e32 v11, s7
	v_mov_b32_e32 v10, s6
	;; [unrolled: 1-line block ×4, first 2 shown]
	global_store_dwordx4 v[8:9], v[10:13], off offset:8
.LBB10_281:
	s_or_b64 exec, exec, s[10:11]
	s_lshl_b64 s[6:7], s[8:9], 12
	v_mov_b32_e32 v7, s7
	v_add_co_u32_e32 v2, vcc, s6, v2
	v_addc_co_u32_e32 v3, vcc, v3, v7, vcc
	s_movk_i32 s6, 0xff1f
	v_and_or_b32 v4, v4, s6, 32
	v_add_co_u32_e32 v10, vcc, v2, v31
	s_mov_b32 s8, 0
	v_mov_b32_e32 v7, v6
	v_readfirstlane_b32 s6, v2
	v_readfirstlane_b32 s7, v3
	v_addc_co_u32_e32 v11, vcc, 0, v3, vcc
	s_mov_b32 s9, s8
	s_mov_b32 s10, s8
	;; [unrolled: 1-line block ×3, first 2 shown]
	s_nop 0
	global_store_dwordx4 v31, v[4:7], s[6:7]
	v_mov_b32_e32 v2, s8
	v_mov_b32_e32 v3, s9
	;; [unrolled: 1-line block ×4, first 2 shown]
	global_store_dwordx4 v31, v[2:5], s[6:7] offset:16
	global_store_dwordx4 v31, v[2:5], s[6:7] offset:32
	;; [unrolled: 1-line block ×3, first 2 shown]
	s_and_saveexec_b64 s[6:7], s[0:1]
	s_cbranch_execz .LBB10_289
; %bb.282:
	v_mov_b32_e32 v6, 0
	global_load_dwordx2 v[14:15], v6, s[2:3] offset:32 glc
	global_load_dwordx2 v[2:3], v6, s[2:3] offset:40
	v_mov_b32_e32 v12, s4
	v_mov_b32_e32 v13, s5
	s_waitcnt vmcnt(0)
	v_readfirstlane_b32 s8, v2
	v_readfirstlane_b32 s9, v3
	s_and_b64 s[8:9], s[8:9], s[4:5]
	s_mul_i32 s9, s9, 24
	s_mul_hi_u32 s10, s8, 24
	s_mul_i32 s8, s8, 24
	s_add_i32 s9, s10, s9
	v_mov_b32_e32 v2, s9
	v_add_co_u32_e32 v4, vcc, s8, v0
	v_addc_co_u32_e32 v5, vcc, v1, v2, vcc
	global_store_dwordx2 v[4:5], v[14:15], off
	s_waitcnt vmcnt(0)
	global_atomic_cmpswap_x2 v[2:3], v6, v[12:15], s[2:3] offset:32 glc
	s_waitcnt vmcnt(0)
	v_cmp_ne_u64_e32 vcc, v[2:3], v[14:15]
	s_and_saveexec_b64 s[8:9], vcc
	s_cbranch_execz .LBB10_285
; %bb.283:
	s_mov_b64 s[10:11], 0
.LBB10_284:                             ; =>This Inner Loop Header: Depth=1
	s_sleep 1
	global_store_dwordx2 v[4:5], v[2:3], off
	v_mov_b32_e32 v0, s4
	v_mov_b32_e32 v1, s5
	s_waitcnt vmcnt(0)
	global_atomic_cmpswap_x2 v[0:1], v6, v[0:3], s[2:3] offset:32 glc
	s_waitcnt vmcnt(0)
	v_cmp_eq_u64_e32 vcc, v[0:1], v[2:3]
	v_mov_b32_e32 v3, v1
	s_or_b64 s[10:11], vcc, s[10:11]
	v_mov_b32_e32 v2, v0
	s_andn2_b64 exec, exec, s[10:11]
	s_cbranch_execnz .LBB10_284
.LBB10_285:
	s_or_b64 exec, exec, s[8:9]
	v_mov_b32_e32 v3, 0
	global_load_dwordx2 v[0:1], v3, s[2:3] offset:16
	s_mov_b64 s[8:9], exec
	v_mbcnt_lo_u32_b32 v2, s8, 0
	v_mbcnt_hi_u32_b32 v2, s9, v2
	v_cmp_eq_u32_e32 vcc, 0, v2
	s_and_saveexec_b64 s[10:11], vcc
	s_cbranch_execz .LBB10_287
; %bb.286:
	s_bcnt1_i32_b64 s8, s[8:9]
	v_mov_b32_e32 v2, s8
	s_waitcnt vmcnt(0)
	global_atomic_add_x2 v[0:1], v[2:3], off offset:8
.LBB10_287:
	s_or_b64 exec, exec, s[10:11]
	s_waitcnt vmcnt(0)
	global_load_dwordx2 v[2:3], v[0:1], off offset:16
	s_waitcnt vmcnt(0)
	v_cmp_eq_u64_e32 vcc, 0, v[2:3]
	s_cbranch_vccnz .LBB10_289
; %bb.288:
	global_load_dword v0, v[0:1], off offset:24
	v_mov_b32_e32 v1, 0
	s_waitcnt vmcnt(0)
	v_readfirstlane_b32 s8, v0
	s_and_b32 m0, s8, 0xffffff
	global_store_dwordx2 v[2:3], v[0:1], off
	s_sendmsg sendmsg(MSG_INTERRUPT)
.LBB10_289:
	s_or_b64 exec, exec, s[6:7]
	s_branch .LBB10_293
.LBB10_290:                             ;   in Loop: Header=BB10_293 Depth=1
	s_or_b64 exec, exec, s[6:7]
	v_readfirstlane_b32 s6, v0
	s_cmp_eq_u32 s6, 0
	s_cbranch_scc1 .LBB10_292
; %bb.291:                              ;   in Loop: Header=BB10_293 Depth=1
	s_sleep 1
	s_cbranch_execnz .LBB10_293
	s_branch .LBB10_295
.LBB10_292:
	s_branch .LBB10_295
.LBB10_293:                             ; =>This Inner Loop Header: Depth=1
	v_mov_b32_e32 v0, 1
	s_and_saveexec_b64 s[6:7], s[0:1]
	s_cbranch_execz .LBB10_290
; %bb.294:                              ;   in Loop: Header=BB10_293 Depth=1
	global_load_dword v0, v[8:9], off offset:20 glc
	s_waitcnt vmcnt(0)
	buffer_wbinvl1_vol
	v_and_b32_e32 v0, 1, v0
	s_branch .LBB10_290
.LBB10_295:
	global_load_dwordx2 v[0:1], v[10:11], off
	s_and_saveexec_b64 s[6:7], s[0:1]
	s_cbranch_execz .LBB10_298
; %bb.296:
	v_mov_b32_e32 v8, 0
	global_load_dwordx2 v[2:3], v8, s[2:3] offset:40
	global_load_dwordx2 v[11:12], v8, s[2:3] offset:24 glc
	global_load_dwordx2 v[4:5], v8, s[2:3]
	s_waitcnt vmcnt(2)
	v_readfirstlane_b32 s8, v2
	v_readfirstlane_b32 s9, v3
	s_add_u32 s10, s8, 1
	s_addc_u32 s11, s9, 0
	s_add_u32 s0, s10, s4
	s_addc_u32 s1, s11, s5
	s_cmp_eq_u64 s[0:1], 0
	s_cselect_b32 s1, s11, s1
	s_cselect_b32 s0, s10, s0
	s_and_b64 s[4:5], s[0:1], s[8:9]
	s_mul_i32 s5, s5, 24
	s_mul_hi_u32 s8, s4, 24
	s_mul_i32 s4, s4, 24
	s_add_i32 s5, s8, s5
	v_mov_b32_e32 v2, s5
	s_waitcnt vmcnt(0)
	v_add_co_u32_e32 v6, vcc, s4, v4
	v_addc_co_u32_e32 v7, vcc, v5, v2, vcc
	v_mov_b32_e32 v9, s0
	global_store_dwordx2 v[6:7], v[11:12], off
	v_mov_b32_e32 v10, s1
	s_waitcnt vmcnt(0)
	global_atomic_cmpswap_x2 v[4:5], v8, v[9:12], s[2:3] offset:24 glc
	s_mov_b64 s[4:5], 0
	s_waitcnt vmcnt(0)
	v_cmp_ne_u64_e32 vcc, v[4:5], v[11:12]
	s_and_b64 exec, exec, vcc
	s_cbranch_execz .LBB10_298
.LBB10_297:                             ; =>This Inner Loop Header: Depth=1
	s_sleep 1
	global_store_dwordx2 v[6:7], v[4:5], off
	v_mov_b32_e32 v2, s0
	v_mov_b32_e32 v3, s1
	s_waitcnt vmcnt(0)
	global_atomic_cmpswap_x2 v[2:3], v8, v[2:5], s[2:3] offset:24 glc
	s_waitcnt vmcnt(0)
	v_cmp_eq_u64_e32 vcc, v[2:3], v[4:5]
	v_mov_b32_e32 v5, v3
	s_or_b64 s[4:5], vcc, s[4:5]
	v_mov_b32_e32 v4, v2
	s_andn2_b64 exec, exec, s[4:5]
	s_cbranch_execnz .LBB10_297
.LBB10_298:
	s_or_b64 exec, exec, s[6:7]
.LBB10_299:
	s_getpc_b64 s[4:5]
	s_add_u32 s4, s4, __FUNCTION__._ZN9rocsparseL39csr2csr_compress_fill_warp_start_deviceILj256ELj32ELj2EfEEviPKT2_PjS1_@rel32@lo+4
	s_addc_u32 s5, s5, __FUNCTION__._ZN9rocsparseL39csr2csr_compress_fill_warp_start_deviceILj256ELj32ELj2EfEEviPKT2_PjS1_@rel32@hi+12
	s_cmp_lg_u64 s[4:5], 0
	s_cbranch_scc0 .LBB10_384
; %bb.300:
	s_waitcnt vmcnt(0)
	v_and_b32_e32 v29, 2, v0
	v_mov_b32_e32 v26, 0
	v_and_b32_e32 v2, -3, v0
	v_mov_b32_e32 v3, v1
	s_mov_b64 s[6:7], 40
	v_mov_b32_e32 v8, 2
	v_mov_b32_e32 v9, 1
	s_branch .LBB10_302
.LBB10_301:                             ;   in Loop: Header=BB10_302 Depth=1
	s_or_b64 exec, exec, s[12:13]
	s_sub_u32 s6, s6, s8
	s_subb_u32 s7, s7, s9
	s_add_u32 s4, s4, s8
	s_addc_u32 s5, s5, s9
	s_cmp_lg_u64 s[6:7], 0
	s_cbranch_scc0 .LBB10_385
.LBB10_302:                             ; =>This Loop Header: Depth=1
                                        ;     Child Loop BB10_305 Depth 2
                                        ;     Child Loop BB10_313 Depth 2
	;; [unrolled: 1-line block ×11, first 2 shown]
	v_cmp_lt_u64_e64 s[0:1], s[6:7], 56
	v_cmp_gt_u64_e64 s[10:11], s[6:7], 7
	s_and_b64 s[0:1], s[0:1], exec
	s_cselect_b32 s9, s7, 0
	s_cselect_b32 s8, s6, 56
	s_add_u32 s0, s4, 8
	s_addc_u32 s1, s5, 0
	s_and_b64 vcc, exec, s[10:11]
	s_cbranch_vccnz .LBB10_306
; %bb.303:                              ;   in Loop: Header=BB10_302 Depth=1
	s_cmp_eq_u64 s[6:7], 0
	s_cbranch_scc1 .LBB10_307
; %bb.304:                              ;   in Loop: Header=BB10_302 Depth=1
	v_mov_b32_e32 v4, 0
	s_lshl_b64 s[0:1], s[8:9], 3
	s_mov_b64 s[10:11], 0
	v_mov_b32_e32 v5, 0
	s_mov_b64 s[12:13], s[4:5]
.LBB10_305:                             ;   Parent Loop BB10_302 Depth=1
                                        ; =>  This Inner Loop Header: Depth=2
	global_load_ubyte v6, v26, s[12:13]
	s_waitcnt vmcnt(0)
	v_and_b32_e32 v25, 0xffff, v6
	v_lshlrev_b64 v[6:7], s10, v[25:26]
	s_add_u32 s10, s10, 8
	s_addc_u32 s11, s11, 0
	s_add_u32 s12, s12, 1
	s_addc_u32 s13, s13, 0
	v_or_b32_e32 v4, v6, v4
	s_cmp_lg_u32 s0, s10
	v_or_b32_e32 v5, v7, v5
	s_cbranch_scc1 .LBB10_305
	s_branch .LBB10_308
.LBB10_306:                             ;   in Loop: Header=BB10_302 Depth=1
	s_mov_b32 s14, 0
	s_branch .LBB10_309
.LBB10_307:                             ;   in Loop: Header=BB10_302 Depth=1
	v_mov_b32_e32 v4, 0
	v_mov_b32_e32 v5, 0
.LBB10_308:                             ;   in Loop: Header=BB10_302 Depth=1
	s_mov_b64 s[0:1], s[4:5]
	s_mov_b32 s14, 0
	s_cbranch_execnz .LBB10_310
.LBB10_309:                             ;   in Loop: Header=BB10_302 Depth=1
	global_load_dwordx2 v[4:5], v26, s[4:5]
	s_add_i32 s14, s8, -8
.LBB10_310:                             ;   in Loop: Header=BB10_302 Depth=1
	s_add_u32 s10, s0, 8
	s_addc_u32 s11, s1, 0
	s_cmp_gt_u32 s14, 7
	s_cbranch_scc1 .LBB10_314
; %bb.311:                              ;   in Loop: Header=BB10_302 Depth=1
	s_cmp_eq_u32 s14, 0
	s_cbranch_scc1 .LBB10_315
; %bb.312:                              ;   in Loop: Header=BB10_302 Depth=1
	v_mov_b32_e32 v10, 0
	s_mov_b64 s[10:11], 0
	v_mov_b32_e32 v11, 0
	s_mov_b64 s[12:13], 0
.LBB10_313:                             ;   Parent Loop BB10_302 Depth=1
                                        ; =>  This Inner Loop Header: Depth=2
	s_add_u32 s16, s0, s12
	s_addc_u32 s17, s1, s13
	global_load_ubyte v6, v26, s[16:17]
	s_add_u32 s12, s12, 1
	s_addc_u32 s13, s13, 0
	s_waitcnt vmcnt(0)
	v_and_b32_e32 v25, 0xffff, v6
	v_lshlrev_b64 v[6:7], s10, v[25:26]
	s_add_u32 s10, s10, 8
	s_addc_u32 s11, s11, 0
	v_or_b32_e32 v10, v6, v10
	s_cmp_lg_u32 s14, s12
	v_or_b32_e32 v11, v7, v11
	s_cbranch_scc1 .LBB10_313
	s_branch .LBB10_316
.LBB10_314:                             ;   in Loop: Header=BB10_302 Depth=1
                                        ; implicit-def: $vgpr10_vgpr11
	s_mov_b32 s15, 0
	s_branch .LBB10_317
.LBB10_315:                             ;   in Loop: Header=BB10_302 Depth=1
	v_mov_b32_e32 v10, 0
	v_mov_b32_e32 v11, 0
.LBB10_316:                             ;   in Loop: Header=BB10_302 Depth=1
	s_mov_b64 s[10:11], s[0:1]
	s_mov_b32 s15, 0
	s_cbranch_execnz .LBB10_318
.LBB10_317:                             ;   in Loop: Header=BB10_302 Depth=1
	global_load_dwordx2 v[10:11], v26, s[0:1]
	s_add_i32 s15, s14, -8
.LBB10_318:                             ;   in Loop: Header=BB10_302 Depth=1
	s_add_u32 s0, s10, 8
	s_addc_u32 s1, s11, 0
	s_cmp_gt_u32 s15, 7
	s_cbranch_scc1 .LBB10_322
; %bb.319:                              ;   in Loop: Header=BB10_302 Depth=1
	s_cmp_eq_u32 s15, 0
	s_cbranch_scc1 .LBB10_323
; %bb.320:                              ;   in Loop: Header=BB10_302 Depth=1
	v_mov_b32_e32 v12, 0
	s_mov_b64 s[0:1], 0
	v_mov_b32_e32 v13, 0
	s_mov_b64 s[12:13], 0
.LBB10_321:                             ;   Parent Loop BB10_302 Depth=1
                                        ; =>  This Inner Loop Header: Depth=2
	s_add_u32 s16, s10, s12
	s_addc_u32 s17, s11, s13
	global_load_ubyte v6, v26, s[16:17]
	s_add_u32 s12, s12, 1
	s_addc_u32 s13, s13, 0
	s_waitcnt vmcnt(0)
	v_and_b32_e32 v25, 0xffff, v6
	v_lshlrev_b64 v[6:7], s0, v[25:26]
	s_add_u32 s0, s0, 8
	s_addc_u32 s1, s1, 0
	v_or_b32_e32 v12, v6, v12
	s_cmp_lg_u32 s15, s12
	v_or_b32_e32 v13, v7, v13
	s_cbranch_scc1 .LBB10_321
	s_branch .LBB10_324
.LBB10_322:                             ;   in Loop: Header=BB10_302 Depth=1
	s_mov_b32 s14, 0
	s_branch .LBB10_325
.LBB10_323:                             ;   in Loop: Header=BB10_302 Depth=1
	v_mov_b32_e32 v12, 0
	v_mov_b32_e32 v13, 0
.LBB10_324:                             ;   in Loop: Header=BB10_302 Depth=1
	s_mov_b64 s[0:1], s[10:11]
	s_mov_b32 s14, 0
	s_cbranch_execnz .LBB10_326
.LBB10_325:                             ;   in Loop: Header=BB10_302 Depth=1
	global_load_dwordx2 v[12:13], v26, s[10:11]
	s_add_i32 s14, s15, -8
.LBB10_326:                             ;   in Loop: Header=BB10_302 Depth=1
	s_add_u32 s10, s0, 8
	s_addc_u32 s11, s1, 0
	s_cmp_gt_u32 s14, 7
	s_cbranch_scc1 .LBB10_330
; %bb.327:                              ;   in Loop: Header=BB10_302 Depth=1
	s_cmp_eq_u32 s14, 0
	s_cbranch_scc1 .LBB10_331
; %bb.328:                              ;   in Loop: Header=BB10_302 Depth=1
	v_mov_b32_e32 v14, 0
	s_mov_b64 s[10:11], 0
	v_mov_b32_e32 v15, 0
	s_mov_b64 s[12:13], 0
.LBB10_329:                             ;   Parent Loop BB10_302 Depth=1
                                        ; =>  This Inner Loop Header: Depth=2
	s_add_u32 s16, s0, s12
	s_addc_u32 s17, s1, s13
	global_load_ubyte v6, v26, s[16:17]
	s_add_u32 s12, s12, 1
	s_addc_u32 s13, s13, 0
	s_waitcnt vmcnt(0)
	v_and_b32_e32 v25, 0xffff, v6
	v_lshlrev_b64 v[6:7], s10, v[25:26]
	s_add_u32 s10, s10, 8
	s_addc_u32 s11, s11, 0
	v_or_b32_e32 v14, v6, v14
	s_cmp_lg_u32 s14, s12
	v_or_b32_e32 v15, v7, v15
	s_cbranch_scc1 .LBB10_329
	s_branch .LBB10_332
.LBB10_330:                             ;   in Loop: Header=BB10_302 Depth=1
                                        ; implicit-def: $vgpr14_vgpr15
	s_mov_b32 s15, 0
	s_branch .LBB10_333
.LBB10_331:                             ;   in Loop: Header=BB10_302 Depth=1
	v_mov_b32_e32 v14, 0
	v_mov_b32_e32 v15, 0
.LBB10_332:                             ;   in Loop: Header=BB10_302 Depth=1
	s_mov_b64 s[10:11], s[0:1]
	s_mov_b32 s15, 0
	s_cbranch_execnz .LBB10_334
.LBB10_333:                             ;   in Loop: Header=BB10_302 Depth=1
	global_load_dwordx2 v[14:15], v26, s[0:1]
	s_add_i32 s15, s14, -8
.LBB10_334:                             ;   in Loop: Header=BB10_302 Depth=1
	s_add_u32 s0, s10, 8
	s_addc_u32 s1, s11, 0
	s_cmp_gt_u32 s15, 7
	s_cbranch_scc1 .LBB10_338
; %bb.335:                              ;   in Loop: Header=BB10_302 Depth=1
	s_cmp_eq_u32 s15, 0
	s_cbranch_scc1 .LBB10_339
; %bb.336:                              ;   in Loop: Header=BB10_302 Depth=1
	v_mov_b32_e32 v16, 0
	s_mov_b64 s[0:1], 0
	v_mov_b32_e32 v17, 0
	s_mov_b64 s[12:13], 0
.LBB10_337:                             ;   Parent Loop BB10_302 Depth=1
                                        ; =>  This Inner Loop Header: Depth=2
	s_add_u32 s16, s10, s12
	s_addc_u32 s17, s11, s13
	global_load_ubyte v6, v26, s[16:17]
	s_add_u32 s12, s12, 1
	s_addc_u32 s13, s13, 0
	s_waitcnt vmcnt(0)
	v_and_b32_e32 v25, 0xffff, v6
	v_lshlrev_b64 v[6:7], s0, v[25:26]
	s_add_u32 s0, s0, 8
	s_addc_u32 s1, s1, 0
	v_or_b32_e32 v16, v6, v16
	s_cmp_lg_u32 s15, s12
	v_or_b32_e32 v17, v7, v17
	s_cbranch_scc1 .LBB10_337
	s_branch .LBB10_340
.LBB10_338:                             ;   in Loop: Header=BB10_302 Depth=1
	s_mov_b32 s14, 0
	s_branch .LBB10_341
.LBB10_339:                             ;   in Loop: Header=BB10_302 Depth=1
	v_mov_b32_e32 v16, 0
	v_mov_b32_e32 v17, 0
.LBB10_340:                             ;   in Loop: Header=BB10_302 Depth=1
	s_mov_b64 s[0:1], s[10:11]
	s_mov_b32 s14, 0
	s_cbranch_execnz .LBB10_342
.LBB10_341:                             ;   in Loop: Header=BB10_302 Depth=1
	global_load_dwordx2 v[16:17], v26, s[10:11]
	s_add_i32 s14, s15, -8
.LBB10_342:                             ;   in Loop: Header=BB10_302 Depth=1
	s_add_u32 s10, s0, 8
	s_addc_u32 s11, s1, 0
	s_cmp_gt_u32 s14, 7
	s_cbranch_scc1 .LBB10_346
; %bb.343:                              ;   in Loop: Header=BB10_302 Depth=1
	s_cmp_eq_u32 s14, 0
	s_cbranch_scc1 .LBB10_347
; %bb.344:                              ;   in Loop: Header=BB10_302 Depth=1
	v_mov_b32_e32 v18, 0
	s_mov_b64 s[10:11], 0
	v_mov_b32_e32 v19, 0
	s_mov_b64 s[12:13], 0
.LBB10_345:                             ;   Parent Loop BB10_302 Depth=1
                                        ; =>  This Inner Loop Header: Depth=2
	s_add_u32 s16, s0, s12
	s_addc_u32 s17, s1, s13
	global_load_ubyte v6, v26, s[16:17]
	s_add_u32 s12, s12, 1
	s_addc_u32 s13, s13, 0
	s_waitcnt vmcnt(0)
	v_and_b32_e32 v25, 0xffff, v6
	v_lshlrev_b64 v[6:7], s10, v[25:26]
	s_add_u32 s10, s10, 8
	s_addc_u32 s11, s11, 0
	v_or_b32_e32 v18, v6, v18
	s_cmp_lg_u32 s14, s12
	v_or_b32_e32 v19, v7, v19
	s_cbranch_scc1 .LBB10_345
	s_branch .LBB10_348
.LBB10_346:                             ;   in Loop: Header=BB10_302 Depth=1
                                        ; implicit-def: $vgpr18_vgpr19
	s_mov_b32 s15, 0
	s_branch .LBB10_349
.LBB10_347:                             ;   in Loop: Header=BB10_302 Depth=1
	v_mov_b32_e32 v18, 0
	v_mov_b32_e32 v19, 0
.LBB10_348:                             ;   in Loop: Header=BB10_302 Depth=1
	s_mov_b64 s[10:11], s[0:1]
	s_mov_b32 s15, 0
	s_cbranch_execnz .LBB10_350
.LBB10_349:                             ;   in Loop: Header=BB10_302 Depth=1
	global_load_dwordx2 v[18:19], v26, s[0:1]
	s_add_i32 s15, s14, -8
.LBB10_350:                             ;   in Loop: Header=BB10_302 Depth=1
	s_cmp_gt_u32 s15, 7
	s_cbranch_scc1 .LBB10_354
; %bb.351:                              ;   in Loop: Header=BB10_302 Depth=1
	s_cmp_eq_u32 s15, 0
	s_cbranch_scc1 .LBB10_355
; %bb.352:                              ;   in Loop: Header=BB10_302 Depth=1
	v_mov_b32_e32 v20, 0
	s_mov_b64 s[0:1], 0
	v_mov_b32_e32 v21, 0
	s_mov_b64 s[12:13], s[10:11]
.LBB10_353:                             ;   Parent Loop BB10_302 Depth=1
                                        ; =>  This Inner Loop Header: Depth=2
	global_load_ubyte v6, v26, s[12:13]
	s_add_i32 s15, s15, -1
	s_waitcnt vmcnt(0)
	v_and_b32_e32 v25, 0xffff, v6
	v_lshlrev_b64 v[6:7], s0, v[25:26]
	s_add_u32 s0, s0, 8
	s_addc_u32 s1, s1, 0
	s_add_u32 s12, s12, 1
	s_addc_u32 s13, s13, 0
	v_or_b32_e32 v20, v6, v20
	s_cmp_lg_u32 s15, 0
	v_or_b32_e32 v21, v7, v21
	s_cbranch_scc1 .LBB10_353
	s_branch .LBB10_356
.LBB10_354:                             ;   in Loop: Header=BB10_302 Depth=1
	s_branch .LBB10_357
.LBB10_355:                             ;   in Loop: Header=BB10_302 Depth=1
	v_mov_b32_e32 v20, 0
	v_mov_b32_e32 v21, 0
.LBB10_356:                             ;   in Loop: Header=BB10_302 Depth=1
	s_cbranch_execnz .LBB10_358
.LBB10_357:                             ;   in Loop: Header=BB10_302 Depth=1
	global_load_dwordx2 v[20:21], v26, s[10:11]
.LBB10_358:                             ;   in Loop: Header=BB10_302 Depth=1
	v_readfirstlane_b32 s0, v32
	v_mov_b32_e32 v6, 0
	v_mov_b32_e32 v7, 0
	v_cmp_eq_u32_e64 s[0:1], s0, v32
	s_and_saveexec_b64 s[10:11], s[0:1]
	s_cbranch_execz .LBB10_364
; %bb.359:                              ;   in Loop: Header=BB10_302 Depth=1
	global_load_dwordx2 v[24:25], v26, s[2:3] offset:24 glc
	s_waitcnt vmcnt(0)
	buffer_wbinvl1_vol
	global_load_dwordx2 v[6:7], v26, s[2:3] offset:40
	global_load_dwordx2 v[22:23], v26, s[2:3]
	s_waitcnt vmcnt(1)
	v_and_b32_e32 v6, v6, v24
	v_and_b32_e32 v7, v7, v25
	v_mul_lo_u32 v7, v7, 24
	v_mul_hi_u32 v27, v6, 24
	v_mul_lo_u32 v6, v6, 24
	v_add_u32_e32 v7, v27, v7
	s_waitcnt vmcnt(0)
	v_add_co_u32_e32 v6, vcc, v22, v6
	v_addc_co_u32_e32 v7, vcc, v23, v7, vcc
	global_load_dwordx2 v[22:23], v[6:7], off glc
	s_waitcnt vmcnt(0)
	global_atomic_cmpswap_x2 v[6:7], v26, v[22:25], s[2:3] offset:24 glc
	s_waitcnt vmcnt(0)
	buffer_wbinvl1_vol
	v_cmp_ne_u64_e32 vcc, v[6:7], v[24:25]
	s_and_saveexec_b64 s[12:13], vcc
	s_cbranch_execz .LBB10_363
; %bb.360:                              ;   in Loop: Header=BB10_302 Depth=1
	s_mov_b64 s[14:15], 0
.LBB10_361:                             ;   Parent Loop BB10_302 Depth=1
                                        ; =>  This Inner Loop Header: Depth=2
	s_sleep 1
	global_load_dwordx2 v[22:23], v26, s[2:3] offset:40
	global_load_dwordx2 v[27:28], v26, s[2:3]
	v_mov_b32_e32 v25, v7
	v_mov_b32_e32 v24, v6
	s_waitcnt vmcnt(1)
	v_and_b32_e32 v6, v22, v24
	s_waitcnt vmcnt(0)
	v_mad_u64_u32 v[6:7], s[16:17], v6, 24, v[27:28]
	v_and_b32_e32 v22, v23, v25
	v_mad_u64_u32 v[22:23], s[16:17], v22, 24, v[7:8]
	v_mov_b32_e32 v7, v22
	global_load_dwordx2 v[22:23], v[6:7], off glc
	s_waitcnt vmcnt(0)
	global_atomic_cmpswap_x2 v[6:7], v26, v[22:25], s[2:3] offset:24 glc
	s_waitcnt vmcnt(0)
	buffer_wbinvl1_vol
	v_cmp_eq_u64_e32 vcc, v[6:7], v[24:25]
	s_or_b64 s[14:15], vcc, s[14:15]
	s_andn2_b64 exec, exec, s[14:15]
	s_cbranch_execnz .LBB10_361
; %bb.362:                              ;   in Loop: Header=BB10_302 Depth=1
	s_or_b64 exec, exec, s[14:15]
.LBB10_363:                             ;   in Loop: Header=BB10_302 Depth=1
	s_or_b64 exec, exec, s[12:13]
.LBB10_364:                             ;   in Loop: Header=BB10_302 Depth=1
	s_or_b64 exec, exec, s[10:11]
	global_load_dwordx2 v[27:28], v26, s[2:3] offset:40
	global_load_dwordx4 v[22:25], v26, s[2:3]
	v_readfirstlane_b32 s11, v7
	v_readfirstlane_b32 s10, v6
	s_mov_b64 s[12:13], exec
	s_waitcnt vmcnt(1)
	v_readfirstlane_b32 s14, v27
	v_readfirstlane_b32 s15, v28
	s_and_b64 s[14:15], s[14:15], s[10:11]
	s_mul_i32 s16, s15, 24
	s_mul_hi_u32 s17, s14, 24
	s_mul_i32 s18, s14, 24
	s_add_i32 s16, s17, s16
	v_mov_b32_e32 v6, s16
	s_waitcnt vmcnt(0)
	v_add_co_u32_e32 v27, vcc, s18, v22
	v_addc_co_u32_e32 v28, vcc, v23, v6, vcc
	s_and_saveexec_b64 s[16:17], s[0:1]
	s_cbranch_execz .LBB10_366
; %bb.365:                              ;   in Loop: Header=BB10_302 Depth=1
	v_mov_b32_e32 v6, s12
	v_mov_b32_e32 v7, s13
	global_store_dwordx4 v[27:28], v[6:9], off offset:8
.LBB10_366:                             ;   in Loop: Header=BB10_302 Depth=1
	s_or_b64 exec, exec, s[16:17]
	s_lshl_b64 s[12:13], s[14:15], 12
	v_mov_b32_e32 v6, s13
	v_add_co_u32_e32 v24, vcc, s12, v24
	v_addc_co_u32_e32 v30, vcc, v25, v6, vcc
	v_cmp_lt_u64_e64 vcc, s[6:7], 57
	s_lshl_b32 s12, s8, 2
	v_cndmask_b32_e32 v6, 0, v29, vcc
	s_add_i32 s12, s12, 28
	v_and_b32_e32 v2, 0xffffff1f, v2
	s_and_b32 s12, s12, 0x1e0
	v_or_b32_e32 v2, v2, v6
	v_or_b32_e32 v2, s12, v2
	v_readfirstlane_b32 s12, v24
	v_readfirstlane_b32 s13, v30
	s_nop 4
	global_store_dwordx4 v31, v[2:5], s[12:13]
	global_store_dwordx4 v31, v[10:13], s[12:13] offset:16
	global_store_dwordx4 v31, v[14:17], s[12:13] offset:32
	;; [unrolled: 1-line block ×3, first 2 shown]
	s_and_saveexec_b64 s[12:13], s[0:1]
	s_cbranch_execz .LBB10_374
; %bb.367:                              ;   in Loop: Header=BB10_302 Depth=1
	global_load_dwordx2 v[12:13], v26, s[2:3] offset:32 glc
	global_load_dwordx2 v[2:3], v26, s[2:3] offset:40
	v_mov_b32_e32 v10, s10
	v_mov_b32_e32 v11, s11
	s_waitcnt vmcnt(0)
	v_readfirstlane_b32 s14, v2
	v_readfirstlane_b32 s15, v3
	s_and_b64 s[14:15], s[14:15], s[10:11]
	s_mul_i32 s15, s15, 24
	s_mul_hi_u32 s16, s14, 24
	s_mul_i32 s14, s14, 24
	s_add_i32 s15, s16, s15
	v_mov_b32_e32 v2, s15
	v_add_co_u32_e32 v6, vcc, s14, v22
	v_addc_co_u32_e32 v7, vcc, v23, v2, vcc
	global_store_dwordx2 v[6:7], v[12:13], off
	s_waitcnt vmcnt(0)
	global_atomic_cmpswap_x2 v[4:5], v26, v[10:13], s[2:3] offset:32 glc
	s_waitcnt vmcnt(0)
	v_cmp_ne_u64_e32 vcc, v[4:5], v[12:13]
	s_and_saveexec_b64 s[14:15], vcc
	s_cbranch_execz .LBB10_370
; %bb.368:                              ;   in Loop: Header=BB10_302 Depth=1
	s_mov_b64 s[16:17], 0
.LBB10_369:                             ;   Parent Loop BB10_302 Depth=1
                                        ; =>  This Inner Loop Header: Depth=2
	s_sleep 1
	global_store_dwordx2 v[6:7], v[4:5], off
	v_mov_b32_e32 v2, s10
	v_mov_b32_e32 v3, s11
	s_waitcnt vmcnt(0)
	global_atomic_cmpswap_x2 v[2:3], v26, v[2:5], s[2:3] offset:32 glc
	s_waitcnt vmcnt(0)
	v_cmp_eq_u64_e32 vcc, v[2:3], v[4:5]
	v_mov_b32_e32 v5, v3
	s_or_b64 s[16:17], vcc, s[16:17]
	v_mov_b32_e32 v4, v2
	s_andn2_b64 exec, exec, s[16:17]
	s_cbranch_execnz .LBB10_369
.LBB10_370:                             ;   in Loop: Header=BB10_302 Depth=1
	s_or_b64 exec, exec, s[14:15]
	global_load_dwordx2 v[2:3], v26, s[2:3] offset:16
	s_mov_b64 s[16:17], exec
	v_mbcnt_lo_u32_b32 v4, s16, 0
	v_mbcnt_hi_u32_b32 v4, s17, v4
	v_cmp_eq_u32_e32 vcc, 0, v4
	s_and_saveexec_b64 s[14:15], vcc
	s_cbranch_execz .LBB10_372
; %bb.371:                              ;   in Loop: Header=BB10_302 Depth=1
	s_bcnt1_i32_b64 s16, s[16:17]
	v_mov_b32_e32 v25, s16
	s_waitcnt vmcnt(0)
	global_atomic_add_x2 v[2:3], v[25:26], off offset:8
.LBB10_372:                             ;   in Loop: Header=BB10_302 Depth=1
	s_or_b64 exec, exec, s[14:15]
	s_waitcnt vmcnt(0)
	global_load_dwordx2 v[4:5], v[2:3], off offset:16
	s_waitcnt vmcnt(0)
	v_cmp_eq_u64_e32 vcc, 0, v[4:5]
	s_cbranch_vccnz .LBB10_374
; %bb.373:                              ;   in Loop: Header=BB10_302 Depth=1
	global_load_dword v25, v[2:3], off offset:24
	s_waitcnt vmcnt(0)
	v_readfirstlane_b32 s14, v25
	s_and_b32 m0, s14, 0xffffff
	global_store_dwordx2 v[4:5], v[25:26], off
	s_sendmsg sendmsg(MSG_INTERRUPT)
.LBB10_374:                             ;   in Loop: Header=BB10_302 Depth=1
	s_or_b64 exec, exec, s[12:13]
	v_add_co_u32_e32 v2, vcc, v24, v31
	v_addc_co_u32_e32 v3, vcc, 0, v30, vcc
	s_branch .LBB10_378
.LBB10_375:                             ;   in Loop: Header=BB10_378 Depth=2
	s_or_b64 exec, exec, s[12:13]
	v_readfirstlane_b32 s12, v4
	s_cmp_eq_u32 s12, 0
	s_cbranch_scc1 .LBB10_377
; %bb.376:                              ;   in Loop: Header=BB10_378 Depth=2
	s_sleep 1
	s_cbranch_execnz .LBB10_378
	s_branch .LBB10_380
.LBB10_377:                             ;   in Loop: Header=BB10_302 Depth=1
	s_branch .LBB10_380
.LBB10_378:                             ;   Parent Loop BB10_302 Depth=1
                                        ; =>  This Inner Loop Header: Depth=2
	v_mov_b32_e32 v4, 1
	s_and_saveexec_b64 s[12:13], s[0:1]
	s_cbranch_execz .LBB10_375
; %bb.379:                              ;   in Loop: Header=BB10_378 Depth=2
	global_load_dword v4, v[27:28], off offset:20 glc
	s_waitcnt vmcnt(0)
	buffer_wbinvl1_vol
	v_and_b32_e32 v4, 1, v4
	s_branch .LBB10_375
.LBB10_380:                             ;   in Loop: Header=BB10_302 Depth=1
	global_load_dwordx2 v[2:3], v[2:3], off
	s_and_saveexec_b64 s[12:13], s[0:1]
	s_cbranch_execz .LBB10_301
; %bb.381:                              ;   in Loop: Header=BB10_302 Depth=1
	global_load_dwordx2 v[4:5], v26, s[2:3] offset:40
	global_load_dwordx2 v[14:15], v26, s[2:3] offset:24 glc
	global_load_dwordx2 v[6:7], v26, s[2:3]
	s_waitcnt vmcnt(2)
	v_readfirstlane_b32 s14, v4
	v_readfirstlane_b32 s15, v5
	s_add_u32 s16, s14, 1
	s_addc_u32 s17, s15, 0
	s_add_u32 s0, s16, s10
	s_addc_u32 s1, s17, s11
	s_cmp_eq_u64 s[0:1], 0
	s_cselect_b32 s1, s17, s1
	s_cselect_b32 s0, s16, s0
	s_and_b64 s[10:11], s[0:1], s[14:15]
	s_mul_i32 s11, s11, 24
	s_mul_hi_u32 s14, s10, 24
	s_mul_i32 s10, s10, 24
	s_add_i32 s11, s14, s11
	v_mov_b32_e32 v4, s11
	s_waitcnt vmcnt(0)
	v_add_co_u32_e32 v10, vcc, s10, v6
	v_addc_co_u32_e32 v11, vcc, v7, v4, vcc
	v_mov_b32_e32 v12, s0
	global_store_dwordx2 v[10:11], v[14:15], off
	v_mov_b32_e32 v13, s1
	s_waitcnt vmcnt(0)
	global_atomic_cmpswap_x2 v[6:7], v26, v[12:15], s[2:3] offset:24 glc
	s_waitcnt vmcnt(0)
	v_cmp_ne_u64_e32 vcc, v[6:7], v[14:15]
	s_and_b64 exec, exec, vcc
	s_cbranch_execz .LBB10_301
; %bb.382:                              ;   in Loop: Header=BB10_302 Depth=1
	s_mov_b64 s[10:11], 0
.LBB10_383:                             ;   Parent Loop BB10_302 Depth=1
                                        ; =>  This Inner Loop Header: Depth=2
	s_sleep 1
	global_store_dwordx2 v[10:11], v[6:7], off
	v_mov_b32_e32 v4, s0
	v_mov_b32_e32 v5, s1
	s_waitcnt vmcnt(0)
	global_atomic_cmpswap_x2 v[4:5], v26, v[4:7], s[2:3] offset:24 glc
	s_waitcnt vmcnt(0)
	v_cmp_eq_u64_e32 vcc, v[4:5], v[6:7]
	v_mov_b32_e32 v7, v5
	s_or_b64 s[10:11], vcc, s[10:11]
	v_mov_b32_e32 v6, v4
	s_andn2_b64 exec, exec, s[10:11]
	s_cbranch_execnz .LBB10_383
	s_branch .LBB10_301
.LBB10_384:
	s_mov_b64 s[0:1], -1
                                        ; implicit-def: $vgpr2_vgpr3
	s_branch .LBB10_386
.LBB10_385:
	s_mov_b64 s[0:1], 0
.LBB10_386:
	s_and_b64 vcc, exec, s[0:1]
	s_cbranch_vccz .LBB10_413
; %bb.387:
	v_readfirstlane_b32 s0, v32
	v_mov_b32_e32 v8, 0
	v_mov_b32_e32 v9, 0
	v_cmp_eq_u32_e64 s[0:1], s0, v32
	s_and_saveexec_b64 s[4:5], s[0:1]
	s_cbranch_execz .LBB10_393
; %bb.388:
	s_waitcnt vmcnt(0)
	v_mov_b32_e32 v2, 0
	global_load_dwordx2 v[5:6], v2, s[2:3] offset:24 glc
	s_waitcnt vmcnt(0)
	buffer_wbinvl1_vol
	global_load_dwordx2 v[3:4], v2, s[2:3] offset:40
	global_load_dwordx2 v[7:8], v2, s[2:3]
	s_waitcnt vmcnt(1)
	v_and_b32_e32 v3, v3, v5
	v_and_b32_e32 v4, v4, v6
	v_mul_lo_u32 v4, v4, 24
	v_mul_hi_u32 v9, v3, 24
	v_mul_lo_u32 v3, v3, 24
	v_add_u32_e32 v4, v9, v4
	s_waitcnt vmcnt(0)
	v_add_co_u32_e32 v3, vcc, v7, v3
	v_addc_co_u32_e32 v4, vcc, v8, v4, vcc
	global_load_dwordx2 v[3:4], v[3:4], off glc
	s_waitcnt vmcnt(0)
	global_atomic_cmpswap_x2 v[8:9], v2, v[3:6], s[2:3] offset:24 glc
	s_waitcnt vmcnt(0)
	buffer_wbinvl1_vol
	v_cmp_ne_u64_e32 vcc, v[8:9], v[5:6]
	s_and_saveexec_b64 s[6:7], vcc
	s_cbranch_execz .LBB10_392
; %bb.389:
	s_mov_b64 s[8:9], 0
.LBB10_390:                             ; =>This Inner Loop Header: Depth=1
	s_sleep 1
	global_load_dwordx2 v[3:4], v2, s[2:3] offset:40
	global_load_dwordx2 v[10:11], v2, s[2:3]
	v_mov_b32_e32 v5, v8
	v_mov_b32_e32 v6, v9
	s_waitcnt vmcnt(1)
	v_and_b32_e32 v3, v3, v5
	s_waitcnt vmcnt(0)
	v_mad_u64_u32 v[7:8], s[10:11], v3, 24, v[10:11]
	v_and_b32_e32 v4, v4, v6
	v_mov_b32_e32 v3, v8
	v_mad_u64_u32 v[3:4], s[10:11], v4, 24, v[3:4]
	v_mov_b32_e32 v8, v3
	global_load_dwordx2 v[3:4], v[7:8], off glc
	s_waitcnt vmcnt(0)
	global_atomic_cmpswap_x2 v[8:9], v2, v[3:6], s[2:3] offset:24 glc
	s_waitcnt vmcnt(0)
	buffer_wbinvl1_vol
	v_cmp_eq_u64_e32 vcc, v[8:9], v[5:6]
	s_or_b64 s[8:9], vcc, s[8:9]
	s_andn2_b64 exec, exec, s[8:9]
	s_cbranch_execnz .LBB10_390
; %bb.391:
	s_or_b64 exec, exec, s[8:9]
.LBB10_392:
	s_or_b64 exec, exec, s[6:7]
.LBB10_393:
	s_or_b64 exec, exec, s[4:5]
	s_waitcnt vmcnt(0)
	v_mov_b32_e32 v2, 0
	global_load_dwordx2 v[10:11], v2, s[2:3] offset:40
	global_load_dwordx4 v[4:7], v2, s[2:3]
	v_readfirstlane_b32 s5, v9
	v_readfirstlane_b32 s4, v8
	s_mov_b64 s[6:7], exec
	s_waitcnt vmcnt(1)
	v_readfirstlane_b32 s8, v10
	v_readfirstlane_b32 s9, v11
	s_and_b64 s[8:9], s[8:9], s[4:5]
	s_mul_i32 s10, s9, 24
	s_mul_hi_u32 s11, s8, 24
	s_mul_i32 s12, s8, 24
	s_add_i32 s10, s11, s10
	v_mov_b32_e32 v3, s10
	s_waitcnt vmcnt(0)
	v_add_co_u32_e32 v8, vcc, s12, v4
	v_addc_co_u32_e32 v9, vcc, v5, v3, vcc
	s_and_saveexec_b64 s[10:11], s[0:1]
	s_cbranch_execz .LBB10_395
; %bb.394:
	v_mov_b32_e32 v11, s7
	v_mov_b32_e32 v10, s6
	;; [unrolled: 1-line block ×4, first 2 shown]
	global_store_dwordx4 v[8:9], v[10:13], off offset:8
.LBB10_395:
	s_or_b64 exec, exec, s[10:11]
	s_lshl_b64 s[6:7], s[8:9], 12
	v_mov_b32_e32 v3, s7
	v_add_co_u32_e32 v10, vcc, s6, v6
	v_addc_co_u32_e32 v11, vcc, v7, v3, vcc
	s_movk_i32 s6, 0xff1f
	v_and_or_b32 v0, v0, s6, 32
	s_mov_b32 s8, 0
	v_mov_b32_e32 v3, v2
	v_readfirstlane_b32 s6, v10
	v_readfirstlane_b32 s7, v11
	v_add_co_u32_e32 v6, vcc, v10, v31
	s_mov_b32 s9, s8
	s_mov_b32 s10, s8
	s_mov_b32 s11, s8
	s_nop 0
	global_store_dwordx4 v31, v[0:3], s[6:7]
	v_addc_co_u32_e32 v7, vcc, 0, v11, vcc
	v_mov_b32_e32 v0, s8
	v_mov_b32_e32 v1, s9
	;; [unrolled: 1-line block ×4, first 2 shown]
	global_store_dwordx4 v31, v[0:3], s[6:7] offset:16
	global_store_dwordx4 v31, v[0:3], s[6:7] offset:32
	;; [unrolled: 1-line block ×3, first 2 shown]
	s_and_saveexec_b64 s[6:7], s[0:1]
	s_cbranch_execz .LBB10_403
; %bb.396:
	v_mov_b32_e32 v10, 0
	global_load_dwordx2 v[13:14], v10, s[2:3] offset:32 glc
	global_load_dwordx2 v[0:1], v10, s[2:3] offset:40
	v_mov_b32_e32 v11, s4
	v_mov_b32_e32 v12, s5
	s_waitcnt vmcnt(0)
	v_readfirstlane_b32 s8, v0
	v_readfirstlane_b32 s9, v1
	s_and_b64 s[8:9], s[8:9], s[4:5]
	s_mul_i32 s9, s9, 24
	s_mul_hi_u32 s10, s8, 24
	s_mul_i32 s8, s8, 24
	s_add_i32 s9, s10, s9
	v_mov_b32_e32 v0, s9
	v_add_co_u32_e32 v4, vcc, s8, v4
	v_addc_co_u32_e32 v5, vcc, v5, v0, vcc
	global_store_dwordx2 v[4:5], v[13:14], off
	s_waitcnt vmcnt(0)
	global_atomic_cmpswap_x2 v[2:3], v10, v[11:14], s[2:3] offset:32 glc
	s_waitcnt vmcnt(0)
	v_cmp_ne_u64_e32 vcc, v[2:3], v[13:14]
	s_and_saveexec_b64 s[8:9], vcc
	s_cbranch_execz .LBB10_399
; %bb.397:
	s_mov_b64 s[10:11], 0
.LBB10_398:                             ; =>This Inner Loop Header: Depth=1
	s_sleep 1
	global_store_dwordx2 v[4:5], v[2:3], off
	v_mov_b32_e32 v0, s4
	v_mov_b32_e32 v1, s5
	s_waitcnt vmcnt(0)
	global_atomic_cmpswap_x2 v[0:1], v10, v[0:3], s[2:3] offset:32 glc
	s_waitcnt vmcnt(0)
	v_cmp_eq_u64_e32 vcc, v[0:1], v[2:3]
	v_mov_b32_e32 v3, v1
	s_or_b64 s[10:11], vcc, s[10:11]
	v_mov_b32_e32 v2, v0
	s_andn2_b64 exec, exec, s[10:11]
	s_cbranch_execnz .LBB10_398
.LBB10_399:
	s_or_b64 exec, exec, s[8:9]
	v_mov_b32_e32 v3, 0
	global_load_dwordx2 v[0:1], v3, s[2:3] offset:16
	s_mov_b64 s[8:9], exec
	v_mbcnt_lo_u32_b32 v2, s8, 0
	v_mbcnt_hi_u32_b32 v2, s9, v2
	v_cmp_eq_u32_e32 vcc, 0, v2
	s_and_saveexec_b64 s[10:11], vcc
	s_cbranch_execz .LBB10_401
; %bb.400:
	s_bcnt1_i32_b64 s8, s[8:9]
	v_mov_b32_e32 v2, s8
	s_waitcnt vmcnt(0)
	global_atomic_add_x2 v[0:1], v[2:3], off offset:8
.LBB10_401:
	s_or_b64 exec, exec, s[10:11]
	s_waitcnt vmcnt(0)
	global_load_dwordx2 v[2:3], v[0:1], off offset:16
	s_waitcnt vmcnt(0)
	v_cmp_eq_u64_e32 vcc, 0, v[2:3]
	s_cbranch_vccnz .LBB10_403
; %bb.402:
	global_load_dword v0, v[0:1], off offset:24
	v_mov_b32_e32 v1, 0
	s_waitcnt vmcnt(0)
	v_readfirstlane_b32 s8, v0
	s_and_b32 m0, s8, 0xffffff
	global_store_dwordx2 v[2:3], v[0:1], off
	s_sendmsg sendmsg(MSG_INTERRUPT)
.LBB10_403:
	s_or_b64 exec, exec, s[6:7]
	s_branch .LBB10_407
.LBB10_404:                             ;   in Loop: Header=BB10_407 Depth=1
	s_or_b64 exec, exec, s[6:7]
	v_readfirstlane_b32 s6, v0
	s_cmp_eq_u32 s6, 0
	s_cbranch_scc1 .LBB10_406
; %bb.405:                              ;   in Loop: Header=BB10_407 Depth=1
	s_sleep 1
	s_cbranch_execnz .LBB10_407
	s_branch .LBB10_409
.LBB10_406:
	s_branch .LBB10_409
.LBB10_407:                             ; =>This Inner Loop Header: Depth=1
	v_mov_b32_e32 v0, 1
	s_and_saveexec_b64 s[6:7], s[0:1]
	s_cbranch_execz .LBB10_404
; %bb.408:                              ;   in Loop: Header=BB10_407 Depth=1
	global_load_dword v0, v[8:9], off offset:20 glc
	s_waitcnt vmcnt(0)
	buffer_wbinvl1_vol
	v_and_b32_e32 v0, 1, v0
	s_branch .LBB10_404
.LBB10_409:
	global_load_dwordx2 v[2:3], v[6:7], off
	s_and_saveexec_b64 s[6:7], s[0:1]
	s_cbranch_execz .LBB10_412
; %bb.410:
	v_mov_b32_e32 v8, 0
	global_load_dwordx2 v[0:1], v8, s[2:3] offset:40
	global_load_dwordx2 v[11:12], v8, s[2:3] offset:24 glc
	global_load_dwordx2 v[4:5], v8, s[2:3]
	s_waitcnt vmcnt(2)
	v_readfirstlane_b32 s8, v0
	v_readfirstlane_b32 s9, v1
	s_add_u32 s10, s8, 1
	s_addc_u32 s11, s9, 0
	s_add_u32 s0, s10, s4
	s_addc_u32 s1, s11, s5
	s_cmp_eq_u64 s[0:1], 0
	s_cselect_b32 s1, s11, s1
	s_cselect_b32 s0, s10, s0
	s_and_b64 s[4:5], s[0:1], s[8:9]
	s_mul_i32 s5, s5, 24
	s_mul_hi_u32 s8, s4, 24
	s_mul_i32 s4, s4, 24
	s_add_i32 s5, s8, s5
	v_mov_b32_e32 v1, s5
	s_waitcnt vmcnt(0)
	v_add_co_u32_e32 v0, vcc, s4, v4
	v_addc_co_u32_e32 v1, vcc, v5, v1, vcc
	v_mov_b32_e32 v9, s0
	global_store_dwordx2 v[0:1], v[11:12], off
	v_mov_b32_e32 v10, s1
	s_waitcnt vmcnt(0)
	global_atomic_cmpswap_x2 v[6:7], v8, v[9:12], s[2:3] offset:24 glc
	s_mov_b64 s[4:5], 0
	s_waitcnt vmcnt(0)
	v_cmp_ne_u64_e32 vcc, v[6:7], v[11:12]
	s_and_b64 exec, exec, vcc
	s_cbranch_execz .LBB10_412
.LBB10_411:                             ; =>This Inner Loop Header: Depth=1
	s_sleep 1
	global_store_dwordx2 v[0:1], v[6:7], off
	v_mov_b32_e32 v4, s0
	v_mov_b32_e32 v5, s1
	s_waitcnt vmcnt(0)
	global_atomic_cmpswap_x2 v[4:5], v8, v[4:7], s[2:3] offset:24 glc
	s_waitcnt vmcnt(0)
	v_cmp_eq_u64_e32 vcc, v[4:5], v[6:7]
	v_mov_b32_e32 v7, v5
	s_or_b64 s[4:5], vcc, s[4:5]
	v_mov_b32_e32 v6, v4
	s_andn2_b64 exec, exec, s[4:5]
	s_cbranch_execnz .LBB10_411
.LBB10_412:
	s_or_b64 exec, exec, s[6:7]
.LBB10_413:
	v_readfirstlane_b32 s0, v32
	s_waitcnt vmcnt(0)
	v_mov_b32_e32 v0, 0
	v_mov_b32_e32 v1, 0
	v_cmp_eq_u32_e64 s[0:1], s0, v32
	s_and_saveexec_b64 s[4:5], s[0:1]
	s_cbranch_execz .LBB10_419
; %bb.414:
	v_mov_b32_e32 v4, 0
	global_load_dwordx2 v[7:8], v4, s[2:3] offset:24 glc
	s_waitcnt vmcnt(0)
	buffer_wbinvl1_vol
	global_load_dwordx2 v[0:1], v4, s[2:3] offset:40
	global_load_dwordx2 v[5:6], v4, s[2:3]
	s_waitcnt vmcnt(1)
	v_and_b32_e32 v0, v0, v7
	v_and_b32_e32 v1, v1, v8
	v_mul_lo_u32 v1, v1, 24
	v_mul_hi_u32 v9, v0, 24
	v_mul_lo_u32 v0, v0, 24
	v_add_u32_e32 v1, v9, v1
	s_waitcnt vmcnt(0)
	v_add_co_u32_e32 v0, vcc, v5, v0
	v_addc_co_u32_e32 v1, vcc, v6, v1, vcc
	global_load_dwordx2 v[5:6], v[0:1], off glc
	s_waitcnt vmcnt(0)
	global_atomic_cmpswap_x2 v[0:1], v4, v[5:8], s[2:3] offset:24 glc
	s_waitcnt vmcnt(0)
	buffer_wbinvl1_vol
	v_cmp_ne_u64_e32 vcc, v[0:1], v[7:8]
	s_and_saveexec_b64 s[6:7], vcc
	s_cbranch_execz .LBB10_418
; %bb.415:
	s_mov_b64 s[8:9], 0
.LBB10_416:                             ; =>This Inner Loop Header: Depth=1
	s_sleep 1
	global_load_dwordx2 v[5:6], v4, s[2:3] offset:40
	global_load_dwordx2 v[9:10], v4, s[2:3]
	v_mov_b32_e32 v8, v1
	v_mov_b32_e32 v7, v0
	s_waitcnt vmcnt(1)
	v_and_b32_e32 v0, v5, v7
	s_waitcnt vmcnt(0)
	v_mad_u64_u32 v[0:1], s[10:11], v0, 24, v[9:10]
	v_and_b32_e32 v5, v6, v8
	v_mad_u64_u32 v[5:6], s[10:11], v5, 24, v[1:2]
	v_mov_b32_e32 v1, v5
	global_load_dwordx2 v[5:6], v[0:1], off glc
	s_waitcnt vmcnt(0)
	global_atomic_cmpswap_x2 v[0:1], v4, v[5:8], s[2:3] offset:24 glc
	s_waitcnt vmcnt(0)
	buffer_wbinvl1_vol
	v_cmp_eq_u64_e32 vcc, v[0:1], v[7:8]
	s_or_b64 s[8:9], vcc, s[8:9]
	s_andn2_b64 exec, exec, s[8:9]
	s_cbranch_execnz .LBB10_416
; %bb.417:
	s_or_b64 exec, exec, s[8:9]
.LBB10_418:
	s_or_b64 exec, exec, s[6:7]
.LBB10_419:
	s_or_b64 exec, exec, s[4:5]
	v_mov_b32_e32 v5, 0
	global_load_dwordx2 v[10:11], v5, s[2:3] offset:40
	global_load_dwordx4 v[6:9], v5, s[2:3]
	v_readfirstlane_b32 s5, v1
	v_readfirstlane_b32 s4, v0
	s_mov_b64 s[6:7], exec
	s_waitcnt vmcnt(1)
	v_readfirstlane_b32 s8, v10
	v_readfirstlane_b32 s9, v11
	s_and_b64 s[8:9], s[8:9], s[4:5]
	s_mul_i32 s10, s9, 24
	s_mul_hi_u32 s11, s8, 24
	s_mul_i32 s12, s8, 24
	s_add_i32 s10, s11, s10
	v_mov_b32_e32 v0, s10
	s_waitcnt vmcnt(0)
	v_add_co_u32_e32 v10, vcc, s12, v6
	v_addc_co_u32_e32 v11, vcc, v7, v0, vcc
	s_and_saveexec_b64 s[10:11], s[0:1]
	s_cbranch_execz .LBB10_421
; %bb.420:
	v_mov_b32_e32 v13, s7
	v_mov_b32_e32 v12, s6
	;; [unrolled: 1-line block ×4, first 2 shown]
	global_store_dwordx4 v[10:11], v[12:15], off offset:8
.LBB10_421:
	s_or_b64 exec, exec, s[10:11]
	s_lshl_b64 s[6:7], s[8:9], 12
	v_mov_b32_e32 v0, s7
	v_add_co_u32_e32 v1, vcc, s6, v8
	v_addc_co_u32_e32 v0, vcc, v9, v0, vcc
	s_movk_i32 s6, 0xff1d
	v_and_or_b32 v2, v2, s6, 34
	s_mov_b32 s8, 0
	v_mov_b32_e32 v4, 0x48
	v_readfirstlane_b32 s6, v1
	v_readfirstlane_b32 s7, v0
	s_mov_b32 s9, s8
	s_mov_b32 s10, s8
	;; [unrolled: 1-line block ×3, first 2 shown]
	s_nop 1
	global_store_dwordx4 v31, v[2:5], s[6:7]
	v_mov_b32_e32 v0, s8
	v_mov_b32_e32 v1, s9
	;; [unrolled: 1-line block ×4, first 2 shown]
	global_store_dwordx4 v31, v[0:3], s[6:7] offset:16
	global_store_dwordx4 v31, v[0:3], s[6:7] offset:32
	;; [unrolled: 1-line block ×3, first 2 shown]
	s_and_saveexec_b64 s[6:7], s[0:1]
	s_cbranch_execz .LBB10_429
; %bb.422:
	v_mov_b32_e32 v8, 0
	global_load_dwordx2 v[14:15], v8, s[2:3] offset:32 glc
	global_load_dwordx2 v[0:1], v8, s[2:3] offset:40
	v_mov_b32_e32 v12, s4
	v_mov_b32_e32 v13, s5
	s_waitcnt vmcnt(0)
	v_readfirstlane_b32 s8, v0
	v_readfirstlane_b32 s9, v1
	s_and_b64 s[8:9], s[8:9], s[4:5]
	s_mul_i32 s9, s9, 24
	s_mul_hi_u32 s10, s8, 24
	s_mul_i32 s8, s8, 24
	s_add_i32 s9, s10, s9
	v_mov_b32_e32 v0, s9
	v_add_co_u32_e32 v4, vcc, s8, v6
	v_addc_co_u32_e32 v5, vcc, v7, v0, vcc
	global_store_dwordx2 v[4:5], v[14:15], off
	s_waitcnt vmcnt(0)
	global_atomic_cmpswap_x2 v[2:3], v8, v[12:15], s[2:3] offset:32 glc
	s_waitcnt vmcnt(0)
	v_cmp_ne_u64_e32 vcc, v[2:3], v[14:15]
	s_and_saveexec_b64 s[8:9], vcc
	s_cbranch_execz .LBB10_425
; %bb.423:
	s_mov_b64 s[10:11], 0
.LBB10_424:                             ; =>This Inner Loop Header: Depth=1
	s_sleep 1
	global_store_dwordx2 v[4:5], v[2:3], off
	v_mov_b32_e32 v0, s4
	v_mov_b32_e32 v1, s5
	s_waitcnt vmcnt(0)
	global_atomic_cmpswap_x2 v[0:1], v8, v[0:3], s[2:3] offset:32 glc
	s_waitcnt vmcnt(0)
	v_cmp_eq_u64_e32 vcc, v[0:1], v[2:3]
	v_mov_b32_e32 v3, v1
	s_or_b64 s[10:11], vcc, s[10:11]
	v_mov_b32_e32 v2, v0
	s_andn2_b64 exec, exec, s[10:11]
	s_cbranch_execnz .LBB10_424
.LBB10_425:
	s_or_b64 exec, exec, s[8:9]
	v_mov_b32_e32 v3, 0
	global_load_dwordx2 v[0:1], v3, s[2:3] offset:16
	s_mov_b64 s[8:9], exec
	v_mbcnt_lo_u32_b32 v2, s8, 0
	v_mbcnt_hi_u32_b32 v2, s9, v2
	v_cmp_eq_u32_e32 vcc, 0, v2
	s_and_saveexec_b64 s[10:11], vcc
	s_cbranch_execz .LBB10_427
; %bb.426:
	s_bcnt1_i32_b64 s8, s[8:9]
	v_mov_b32_e32 v2, s8
	s_waitcnt vmcnt(0)
	global_atomic_add_x2 v[0:1], v[2:3], off offset:8
.LBB10_427:
	s_or_b64 exec, exec, s[10:11]
	s_waitcnt vmcnt(0)
	global_load_dwordx2 v[2:3], v[0:1], off offset:16
	s_waitcnt vmcnt(0)
	v_cmp_eq_u64_e32 vcc, 0, v[2:3]
	s_cbranch_vccnz .LBB10_429
; %bb.428:
	global_load_dword v0, v[0:1], off offset:24
	v_mov_b32_e32 v1, 0
	s_waitcnt vmcnt(0)
	v_readfirstlane_b32 s8, v0
	s_and_b32 m0, s8, 0xffffff
	global_store_dwordx2 v[2:3], v[0:1], off
	s_sendmsg sendmsg(MSG_INTERRUPT)
.LBB10_429:
	s_or_b64 exec, exec, s[6:7]
	s_branch .LBB10_433
.LBB10_430:                             ;   in Loop: Header=BB10_433 Depth=1
	s_or_b64 exec, exec, s[6:7]
	v_readfirstlane_b32 s6, v0
	s_cmp_eq_u32 s6, 0
	s_cbranch_scc1 .LBB10_432
; %bb.431:                              ;   in Loop: Header=BB10_433 Depth=1
	s_sleep 1
	s_cbranch_execnz .LBB10_433
	s_branch .LBB10_435
.LBB10_432:
	s_branch .LBB10_435
.LBB10_433:                             ; =>This Inner Loop Header: Depth=1
	v_mov_b32_e32 v0, 1
	s_and_saveexec_b64 s[6:7], s[0:1]
	s_cbranch_execz .LBB10_430
; %bb.434:                              ;   in Loop: Header=BB10_433 Depth=1
	global_load_dword v0, v[10:11], off offset:20 glc
	s_waitcnt vmcnt(0)
	buffer_wbinvl1_vol
	v_and_b32_e32 v0, 1, v0
	s_branch .LBB10_430
.LBB10_435:
	s_and_saveexec_b64 s[6:7], s[0:1]
	s_cbranch_execz .LBB10_438
; %bb.436:
	v_mov_b32_e32 v6, 0
	global_load_dwordx2 v[0:1], v6, s[2:3] offset:40
	global_load_dwordx2 v[9:10], v6, s[2:3] offset:24 glc
	global_load_dwordx2 v[2:3], v6, s[2:3]
	s_waitcnt vmcnt(2)
	v_readfirstlane_b32 s8, v0
	v_readfirstlane_b32 s9, v1
	s_add_u32 s10, s8, 1
	s_addc_u32 s11, s9, 0
	s_add_u32 s0, s10, s4
	s_addc_u32 s1, s11, s5
	s_cmp_eq_u64 s[0:1], 0
	s_cselect_b32 s1, s11, s1
	s_cselect_b32 s0, s10, s0
	s_and_b64 s[4:5], s[0:1], s[8:9]
	s_mul_i32 s5, s5, 24
	s_mul_hi_u32 s8, s4, 24
	s_mul_i32 s4, s4, 24
	s_add_i32 s5, s8, s5
	v_mov_b32_e32 v0, s5
	s_waitcnt vmcnt(0)
	v_add_co_u32_e32 v4, vcc, s4, v2
	v_addc_co_u32_e32 v5, vcc, v3, v0, vcc
	v_mov_b32_e32 v7, s0
	global_store_dwordx2 v[4:5], v[9:10], off
	v_mov_b32_e32 v8, s1
	s_waitcnt vmcnt(0)
	global_atomic_cmpswap_x2 v[2:3], v6, v[7:10], s[2:3] offset:24 glc
	s_mov_b64 s[4:5], 0
	s_waitcnt vmcnt(0)
	v_cmp_ne_u64_e32 vcc, v[2:3], v[9:10]
	s_and_b64 exec, exec, vcc
	s_cbranch_execz .LBB10_438
.LBB10_437:                             ; =>This Inner Loop Header: Depth=1
	s_sleep 1
	global_store_dwordx2 v[4:5], v[2:3], off
	v_mov_b32_e32 v0, s0
	v_mov_b32_e32 v1, s1
	s_waitcnt vmcnt(0)
	global_atomic_cmpswap_x2 v[0:1], v6, v[0:3], s[2:3] offset:24 glc
	s_waitcnt vmcnt(0)
	v_cmp_eq_u64_e32 vcc, v[0:1], v[2:3]
	v_mov_b32_e32 v3, v1
	s_or_b64 s[4:5], vcc, s[4:5]
	v_mov_b32_e32 v2, v0
	s_andn2_b64 exec, exec, s[4:5]
	s_cbranch_execnz .LBB10_437
.LBB10_438:
	s_or_b64 exec, exec, s[6:7]
	s_trap 2
	; divergent unreachable
	s_endpgm
	.section	.rodata,"a",@progbits
	.p2align	6, 0x0
	.amdhsa_kernel _ZN9rocsparseL39csr2csr_compress_fill_warp_start_deviceILj256ELj64ELj2E21rocsparse_complex_numIfEEEviPKT2_PjS3_
		.amdhsa_group_segment_fixed_size 0
		.amdhsa_private_segment_fixed_size 0
		.amdhsa_kernarg_size 288
		.amdhsa_user_sgpr_count 6
		.amdhsa_user_sgpr_private_segment_buffer 1
		.amdhsa_user_sgpr_dispatch_ptr 0
		.amdhsa_user_sgpr_queue_ptr 0
		.amdhsa_user_sgpr_kernarg_segment_ptr 1
		.amdhsa_user_sgpr_dispatch_id 0
		.amdhsa_user_sgpr_flat_scratch_init 0
		.amdhsa_user_sgpr_private_segment_size 0
		.amdhsa_uses_dynamic_stack 0
		.amdhsa_system_sgpr_private_segment_wavefront_offset 0
		.amdhsa_system_sgpr_workgroup_id_x 1
		.amdhsa_system_sgpr_workgroup_id_y 0
		.amdhsa_system_sgpr_workgroup_id_z 0
		.amdhsa_system_sgpr_workgroup_info 0
		.amdhsa_system_vgpr_workitem_id 0
		.amdhsa_next_free_vgpr 34
		.amdhsa_next_free_sgpr 20
		.amdhsa_reserve_vcc 1
		.amdhsa_reserve_flat_scratch 0
		.amdhsa_float_round_mode_32 0
		.amdhsa_float_round_mode_16_64 0
		.amdhsa_float_denorm_mode_32 3
		.amdhsa_float_denorm_mode_16_64 3
		.amdhsa_dx10_clamp 1
		.amdhsa_ieee_mode 1
		.amdhsa_fp16_overflow 0
		.amdhsa_exception_fp_ieee_invalid_op 0
		.amdhsa_exception_fp_denorm_src 0
		.amdhsa_exception_fp_ieee_div_zero 0
		.amdhsa_exception_fp_ieee_overflow 0
		.amdhsa_exception_fp_ieee_underflow 0
		.amdhsa_exception_fp_ieee_inexact 0
		.amdhsa_exception_int_div_zero 0
	.end_amdhsa_kernel
	.section	.text._ZN9rocsparseL39csr2csr_compress_fill_warp_start_deviceILj256ELj64ELj2E21rocsparse_complex_numIfEEEviPKT2_PjS3_,"axG",@progbits,_ZN9rocsparseL39csr2csr_compress_fill_warp_start_deviceILj256ELj64ELj2E21rocsparse_complex_numIfEEEviPKT2_PjS3_,comdat
.Lfunc_end10:
	.size	_ZN9rocsparseL39csr2csr_compress_fill_warp_start_deviceILj256ELj64ELj2E21rocsparse_complex_numIfEEEviPKT2_PjS3_, .Lfunc_end10-_ZN9rocsparseL39csr2csr_compress_fill_warp_start_deviceILj256ELj64ELj2E21rocsparse_complex_numIfEEEviPKT2_PjS3_
                                        ; -- End function
	.set _ZN9rocsparseL39csr2csr_compress_fill_warp_start_deviceILj256ELj64ELj2E21rocsparse_complex_numIfEEEviPKT2_PjS3_.num_vgpr, 34
	.set _ZN9rocsparseL39csr2csr_compress_fill_warp_start_deviceILj256ELj64ELj2E21rocsparse_complex_numIfEEEviPKT2_PjS3_.num_agpr, 0
	.set _ZN9rocsparseL39csr2csr_compress_fill_warp_start_deviceILj256ELj64ELj2E21rocsparse_complex_numIfEEEviPKT2_PjS3_.numbered_sgpr, 20
	.set _ZN9rocsparseL39csr2csr_compress_fill_warp_start_deviceILj256ELj64ELj2E21rocsparse_complex_numIfEEEviPKT2_PjS3_.num_named_barrier, 0
	.set _ZN9rocsparseL39csr2csr_compress_fill_warp_start_deviceILj256ELj64ELj2E21rocsparse_complex_numIfEEEviPKT2_PjS3_.private_seg_size, 0
	.set _ZN9rocsparseL39csr2csr_compress_fill_warp_start_deviceILj256ELj64ELj2E21rocsparse_complex_numIfEEEviPKT2_PjS3_.uses_vcc, 1
	.set _ZN9rocsparseL39csr2csr_compress_fill_warp_start_deviceILj256ELj64ELj2E21rocsparse_complex_numIfEEEviPKT2_PjS3_.uses_flat_scratch, 0
	.set _ZN9rocsparseL39csr2csr_compress_fill_warp_start_deviceILj256ELj64ELj2E21rocsparse_complex_numIfEEEviPKT2_PjS3_.has_dyn_sized_stack, 0
	.set _ZN9rocsparseL39csr2csr_compress_fill_warp_start_deviceILj256ELj64ELj2E21rocsparse_complex_numIfEEEviPKT2_PjS3_.has_recursion, 0
	.set _ZN9rocsparseL39csr2csr_compress_fill_warp_start_deviceILj256ELj64ELj2E21rocsparse_complex_numIfEEEviPKT2_PjS3_.has_indirect_call, 0
	.section	.AMDGPU.csdata,"",@progbits
; Kernel info:
; codeLenInByte = 15176
; TotalNumSgprs: 24
; NumVgprs: 34
; ScratchSize: 0
; MemoryBound: 0
; FloatMode: 240
; IeeeMode: 1
; LDSByteSize: 0 bytes/workgroup (compile time only)
; SGPRBlocks: 2
; VGPRBlocks: 8
; NumSGPRsForWavesPerEU: 24
; NumVGPRsForWavesPerEU: 34
; Occupancy: 7
; WaveLimiterHint : 1
; COMPUTE_PGM_RSRC2:SCRATCH_EN: 0
; COMPUTE_PGM_RSRC2:USER_SGPR: 6
; COMPUTE_PGM_RSRC2:TRAP_HANDLER: 0
; COMPUTE_PGM_RSRC2:TGID_X_EN: 1
; COMPUTE_PGM_RSRC2:TGID_Y_EN: 0
; COMPUTE_PGM_RSRC2:TGID_Z_EN: 0
; COMPUTE_PGM_RSRC2:TIDIG_COMP_CNT: 0
	.section	.text._ZN9rocsparseL38csr2csr_compress_use_warp_start_deviceILj256ELj32ELj2E21rocsparse_complex_numIfEEEvi21rocsparse_index_base_PKT2_PKiS3_PS4_PiPKjS4_,"axG",@progbits,_ZN9rocsparseL38csr2csr_compress_use_warp_start_deviceILj256ELj32ELj2E21rocsparse_complex_numIfEEEvi21rocsparse_index_base_PKT2_PKiS3_PS4_PiPKjS4_,comdat
	.globl	_ZN9rocsparseL38csr2csr_compress_use_warp_start_deviceILj256ELj32ELj2E21rocsparse_complex_numIfEEEvi21rocsparse_index_base_PKT2_PKiS3_PS4_PiPKjS4_ ; -- Begin function _ZN9rocsparseL38csr2csr_compress_use_warp_start_deviceILj256ELj32ELj2E21rocsparse_complex_numIfEEEvi21rocsparse_index_base_PKT2_PKiS3_PS4_PiPKjS4_
	.p2align	8
	.type	_ZN9rocsparseL38csr2csr_compress_use_warp_start_deviceILj256ELj32ELj2E21rocsparse_complex_numIfEEEvi21rocsparse_index_base_PKT2_PKiS3_PS4_PiPKjS4_,@function
_ZN9rocsparseL38csr2csr_compress_use_warp_start_deviceILj256ELj32ELj2E21rocsparse_complex_numIfEEEvi21rocsparse_index_base_PKT2_PKiS3_PS4_PiPKjS4_: ; @_ZN9rocsparseL38csr2csr_compress_use_warp_start_deviceILj256ELj32ELj2E21rocsparse_complex_numIfEEEvi21rocsparse_index_base_PKT2_PKiS3_PS4_PiPKjS4_
; %bb.0:
	s_load_dwordx4 s[12:15], s[4:5], 0x0
	s_load_dwordx2 s[16:17], s[4:5], 0x10
	s_load_dword s0, s[4:5], 0x18
	s_load_dwordx4 s[8:11], s[4:5], 0x20
	s_load_dwordx2 s[18:19], s[4:5], 0x30
	s_load_dword s25, s[4:5], 0x38
	v_lshl_or_b32 v1, s6, 9, v0
	v_lshrrev_b32_e32 v2, 5, v0
	v_not_b32_e32 v0, v0
	v_lshrrev_b32_e64 v0, v0, -1
	v_lshl_or_b32 v3, s6, 4, v2
	s_waitcnt lgkmcnt(0)
	s_sub_i32 s24, s0, s13
	v_cmp_gt_i32_e32 vcc, s12, v1
	s_mov_b64 s[0:1], -1
	s_mov_b64 s[6:7], 0
	s_and_saveexec_b64 s[20:21], vcc
	s_cbranch_execnz .LBB11_4
; %bb.1:
	s_or_b64 exec, exec, s[20:21]
	s_and_saveexec_b64 s[20:21], s[0:1]
	s_cbranch_execnz .LBB11_23
.LBB11_2:
	s_or_b64 exec, exec, s[20:21]
	s_and_saveexec_b64 s[0:1], s[6:7]
	s_xor_b64 s[0:1], exec, s[0:1]
	s_cbranch_execnz .LBB11_44
.LBB11_3:
	s_endpgm
.LBB11_4:
	v_ashrrev_i32_e32 v2, 31, v1
	v_lshlrev_b64 v[4:5], 3, v[1:2]
	v_mov_b32_e32 v6, s15
	v_add_co_u32_e32 v4, vcc, s14, v4
	v_addc_co_u32_e32 v5, vcc, v6, v5, vcc
	global_load_dwordx2 v[5:6], v[4:5], off glc slc
                                        ; implicit-def: $vgpr8
	s_waitcnt vmcnt(0)
	v_cmp_gt_f32_e32 vcc, 0, v5
	v_cndmask_b32_e64 v4, v5, -v5, vcc
	v_cmp_gt_f32_e32 vcc, 0, v6
	v_cndmask_b32_e64 v7, v6, -v6, vcc
	v_cmp_ngt_f32_e64 s[0:1], v4, v7
	s_and_saveexec_b64 s[2:3], s[0:1]
	s_xor_b64 s[6:7], exec, s[2:3]
	s_cbranch_execz .LBB11_8
; %bb.5:
	v_mov_b32_e32 v8, 0
	v_cmp_neq_f32_e32 vcc, 0, v6
	s_and_saveexec_b64 s[22:23], vcc
	s_cbranch_execz .LBB11_7
; %bb.6:
	v_div_scale_f32 v8, s[2:3], v7, v7, v4
	v_div_scale_f32 v9, vcc, v4, v7, v4
	s_mov_b32 s2, 0xf800000
	v_rcp_f32_e32 v10, v8
	v_fma_f32 v11, -v8, v10, 1.0
	v_fmac_f32_e32 v10, v11, v10
	v_mul_f32_e32 v11, v9, v10
	v_fma_f32 v12, -v8, v11, v9
	v_fmac_f32_e32 v11, v12, v10
	v_fma_f32 v8, -v8, v11, v9
	v_div_fmas_f32 v8, v8, v10, v11
	v_mov_b32_e32 v10, 0x260
	v_div_fixup_f32 v8, v8, v7, v4
	v_fma_f32 v8, v8, v8, 1.0
	v_mul_f32_e32 v9, 0x4f800000, v8
	v_cmp_gt_f32_e32 vcc, s2, v8
	v_cndmask_b32_e32 v8, v8, v9, vcc
	v_sqrt_f32_e32 v9, v8
	v_add_u32_e32 v11, -1, v9
	v_add_u32_e32 v12, 1, v9
	v_fma_f32 v13, -v11, v9, v8
	v_fma_f32 v14, -v12, v9, v8
	v_cmp_ge_f32_e64 s[2:3], 0, v13
	v_cndmask_b32_e64 v9, v9, v11, s[2:3]
	v_cmp_lt_f32_e64 s[2:3], 0, v14
	v_cndmask_b32_e64 v9, v9, v12, s[2:3]
	v_mul_f32_e32 v11, 0x37800000, v9
	v_cndmask_b32_e32 v9, v9, v11, vcc
	v_cmp_class_f32_e32 vcc, v8, v10
	v_cndmask_b32_e32 v8, v9, v8, vcc
	v_mul_f32_e32 v8, v7, v8
.LBB11_7:
	s_or_b64 exec, exec, s[22:23]
.LBB11_8:
	s_andn2_saveexec_b64 s[6:7], s[6:7]
	s_cbranch_execz .LBB11_10
; %bb.9:
	v_div_scale_f32 v8, s[2:3], v4, v4, v7
	v_div_scale_f32 v9, vcc, v7, v4, v7
	s_mov_b32 s2, 0xf800000
	v_rcp_f32_e32 v10, v8
	v_fma_f32 v11, -v8, v10, 1.0
	v_fmac_f32_e32 v10, v11, v10
	v_mul_f32_e32 v11, v9, v10
	v_fma_f32 v12, -v8, v11, v9
	v_fmac_f32_e32 v11, v12, v10
	v_fma_f32 v8, -v8, v11, v9
	v_div_fmas_f32 v8, v8, v10, v11
	v_mov_b32_e32 v10, 0x260
	v_div_fixup_f32 v8, v8, v4, v7
	v_fma_f32 v8, v8, v8, 1.0
	v_mul_f32_e32 v9, 0x4f800000, v8
	v_cmp_gt_f32_e32 vcc, s2, v8
	v_cndmask_b32_e32 v8, v8, v9, vcc
	v_sqrt_f32_e32 v9, v8
	v_add_u32_e32 v11, -1, v9
	v_add_u32_e32 v12, 1, v9
	v_fma_f32 v13, -v11, v9, v8
	v_fma_f32 v14, -v12, v9, v8
	v_cmp_ge_f32_e64 s[2:3], 0, v13
	v_cndmask_b32_e64 v9, v9, v11, s[2:3]
	v_cmp_lt_f32_e64 s[2:3], 0, v14
	v_cndmask_b32_e64 v9, v9, v12, s[2:3]
	v_mul_f32_e32 v11, 0x37800000, v9
	v_cndmask_b32_e32 v9, v9, v11, vcc
	v_cmp_class_f32_e32 vcc, v8, v10
	v_cndmask_b32_e32 v8, v9, v8, vcc
	v_mul_f32_e32 v8, v4, v8
.LBB11_10:
	s_or_b64 exec, exec, s[6:7]
	v_cmp_lt_f32_e32 vcc, s25, v8
	s_mov_b64 s[6:7], 0
	s_and_saveexec_b64 s[2:3], vcc
	s_cbranch_execz .LBB11_18
; %bb.11:
                                        ; implicit-def: $vgpr8
	s_and_saveexec_b64 s[6:7], s[0:1]
	s_xor_b64 s[6:7], exec, s[6:7]
	s_cbranch_execz .LBB11_15
; %bb.12:
	v_mov_b32_e32 v8, 0
	v_cmp_neq_f32_e32 vcc, 0, v6
	s_and_saveexec_b64 s[22:23], vcc
	s_cbranch_execz .LBB11_14
; %bb.13:
	v_div_scale_f32 v8, s[0:1], v7, v7, v4
	v_div_scale_f32 v9, vcc, v4, v7, v4
	s_mov_b32 s0, 0xf800000
	v_rcp_f32_e32 v10, v8
	v_fma_f32 v11, -v8, v10, 1.0
	v_fmac_f32_e32 v10, v11, v10
	v_mul_f32_e32 v11, v9, v10
	v_fma_f32 v12, -v8, v11, v9
	v_fmac_f32_e32 v11, v12, v10
	v_fma_f32 v8, -v8, v11, v9
	v_div_fmas_f32 v8, v8, v10, v11
	v_mov_b32_e32 v9, 0x260
	v_div_fixup_f32 v4, v8, v7, v4
	v_fma_f32 v4, v4, v4, 1.0
	v_mul_f32_e32 v8, 0x4f800000, v4
	v_cmp_gt_f32_e32 vcc, s0, v4
	v_cndmask_b32_e32 v4, v4, v8, vcc
	v_sqrt_f32_e32 v8, v4
	v_add_u32_e32 v10, -1, v8
	v_add_u32_e32 v11, 1, v8
	v_fma_f32 v12, -v10, v8, v4
	v_fma_f32 v13, -v11, v8, v4
	v_cmp_ge_f32_e64 s[0:1], 0, v12
	v_cndmask_b32_e64 v8, v8, v10, s[0:1]
	v_cmp_lt_f32_e64 s[0:1], 0, v13
	v_cndmask_b32_e64 v8, v8, v11, s[0:1]
	v_mul_f32_e32 v10, 0x37800000, v8
	v_cndmask_b32_e32 v8, v8, v10, vcc
	v_cmp_class_f32_e32 vcc, v4, v9
	v_cndmask_b32_e32 v4, v8, v4, vcc
	v_mul_f32_e32 v8, v7, v4
.LBB11_14:
	s_or_b64 exec, exec, s[22:23]
                                        ; implicit-def: $vgpr4
                                        ; implicit-def: $vgpr7
.LBB11_15:
	s_andn2_saveexec_b64 s[6:7], s[6:7]
	s_cbranch_execz .LBB11_17
; %bb.16:
	v_div_scale_f32 v8, s[0:1], v4, v4, v7
	v_div_scale_f32 v9, vcc, v7, v4, v7
	s_mov_b32 s0, 0xf800000
	v_rcp_f32_e32 v10, v8
	v_fma_f32 v11, -v8, v10, 1.0
	v_fmac_f32_e32 v10, v11, v10
	v_mul_f32_e32 v11, v9, v10
	v_fma_f32 v12, -v8, v11, v9
	v_fmac_f32_e32 v11, v12, v10
	v_fma_f32 v8, -v8, v11, v9
	v_div_fmas_f32 v8, v8, v10, v11
	v_mov_b32_e32 v9, 0x260
	v_div_fixup_f32 v7, v8, v4, v7
	v_fma_f32 v7, v7, v7, 1.0
	v_mul_f32_e32 v8, 0x4f800000, v7
	v_cmp_gt_f32_e32 vcc, s0, v7
	v_cndmask_b32_e32 v7, v7, v8, vcc
	v_sqrt_f32_e32 v8, v7
	v_add_u32_e32 v10, -1, v8
	v_add_u32_e32 v11, 1, v8
	v_fma_f32 v12, -v10, v8, v7
	v_fma_f32 v13, -v11, v8, v7
	v_cmp_ge_f32_e64 s[0:1], 0, v12
	v_cndmask_b32_e64 v8, v8, v10, s[0:1]
	v_cmp_lt_f32_e64 s[0:1], 0, v13
	v_cndmask_b32_e64 v8, v8, v11, s[0:1]
	v_mul_f32_e32 v10, 0x37800000, v8
	v_cndmask_b32_e32 v8, v8, v10, vcc
	v_cmp_class_f32_e32 vcc, v7, v9
	v_cndmask_b32_e32 v7, v8, v7, vcc
	v_mul_f32_e32 v8, v4, v7
.LBB11_17:
	s_or_b64 exec, exec, s[6:7]
	s_mov_b32 s0, 0x800000
	v_cmp_lt_f32_e32 vcc, s0, v8
	s_and_b64 s[6:7], vcc, exec
.LBB11_18:
	s_or_b64 exec, exec, s[2:3]
	v_cndmask_b32_e64 v4, 0, 1, s[6:7]
	v_cmp_ne_u32_e32 vcc, 0, v4
	s_mov_b64 s[2:3], -1
	s_mov_b64 s[22:23], 0
	s_and_saveexec_b64 s[0:1], s[6:7]
	s_cbranch_execz .LBB11_22
; %bb.19:
	v_mov_b32_e32 v8, 0
	v_and_b32_e32 v7, vcc_lo, v0
	v_cmp_ne_u64_e32 vcc, 0, v[7:8]
	s_mov_b64 s[2:3], 0
	s_mov_b64 s[22:23], -1
	s_and_saveexec_b64 s[6:7], vcc
	s_cbranch_execz .LBB11_21
; %bb.20:
	v_mov_b32_e32 v4, v8
	v_lshlrev_b64 v[9:10], 2, v[3:4]
	v_mov_b32_e32 v4, s19
	v_add_co_u32_e32 v9, vcc, s18, v9
	v_lshlrev_b64 v[11:12], 2, v[1:2]
	v_addc_co_u32_e32 v10, vcc, v4, v10, vcc
	v_mov_b32_e32 v2, s17
	v_add_co_u32_e32 v11, vcc, s16, v11
	v_addc_co_u32_e32 v12, vcc, v2, v12, vcc
	global_load_dword v2, v[11:12], off
	global_load_dword v4, v[9:10], off
	v_bcnt_u32_b32 v7, v7, 0
	v_mov_b32_e32 v11, s9
	s_mov_b64 s[2:3], exec
	v_mov_b32_e32 v12, s11
	s_xor_b64 s[22:23], exec, -1
	s_waitcnt vmcnt(1)
	v_add_u32_e32 v2, s24, v2
	s_waitcnt vmcnt(0)
	v_add3_u32 v7, v7, v4, -1
	v_lshlrev_b64 v[9:10], 3, v[7:8]
	v_lshlrev_b64 v[7:8], 2, v[7:8]
	v_add_co_u32_e32 v9, vcc, s8, v9
	v_addc_co_u32_e32 v10, vcc, v11, v10, vcc
	v_add_co_u32_e32 v7, vcc, s10, v7
	v_addc_co_u32_e32 v8, vcc, v12, v8, vcc
	global_store_dwordx2 v[9:10], v[5:6], off
	global_store_dword v[7:8], v2, off
.LBB11_21:
	s_or_b64 exec, exec, s[6:7]
	s_and_b64 s[22:23], s[22:23], exec
	s_orn2_b64 s[2:3], s[2:3], exec
.LBB11_22:
	s_or_b64 exec, exec, s[0:1]
	s_and_b64 s[6:7], s[22:23], exec
	s_orn2_b64 s[0:1], s[2:3], exec
	s_or_b64 exec, exec, s[20:21]
	s_and_saveexec_b64 s[20:21], s[0:1]
	s_cbranch_execz .LBB11_2
.LBB11_23:
	v_add_u32_e32 v2, 0x100, v1
	v_cmp_gt_i32_e32 vcc, s12, v2
	s_mov_b64 s[0:1], s[6:7]
	s_and_saveexec_b64 s[12:13], vcc
	s_cbranch_execz .LBB11_43
; %bb.24:
	v_ashrrev_i32_e32 v2, 31, v1
	v_lshlrev_b64 v[4:5], 3, v[1:2]
	v_mov_b32_e32 v6, s15
	v_add_co_u32_e32 v4, vcc, s14, v4
	v_addc_co_u32_e32 v5, vcc, v6, v5, vcc
	global_load_dwordx2 v[4:5], v[4:5], off offset:2048 glc slc
                                        ; implicit-def: $vgpr8
	s_waitcnt vmcnt(0)
	v_cmp_gt_f32_e32 vcc, 0, v4
	v_cndmask_b32_e64 v6, v4, -v4, vcc
	v_cmp_gt_f32_e32 vcc, 0, v5
	v_cndmask_b32_e64 v7, v5, -v5, vcc
	v_cmp_ngt_f32_e64 s[0:1], v6, v7
	s_and_saveexec_b64 s[2:3], s[0:1]
	s_xor_b64 s[14:15], exec, s[2:3]
	s_cbranch_execz .LBB11_28
; %bb.25:
	v_mov_b32_e32 v8, 0
	v_cmp_neq_f32_e32 vcc, 0, v5
	s_and_saveexec_b64 s[22:23], vcc
	s_cbranch_execz .LBB11_27
; %bb.26:
	v_div_scale_f32 v8, s[2:3], v7, v7, v6
	v_div_scale_f32 v9, vcc, v6, v7, v6
	s_mov_b32 s2, 0xf800000
	v_rcp_f32_e32 v10, v8
	v_fma_f32 v11, -v8, v10, 1.0
	v_fmac_f32_e32 v10, v11, v10
	v_mul_f32_e32 v11, v9, v10
	v_fma_f32 v12, -v8, v11, v9
	v_fmac_f32_e32 v11, v12, v10
	v_fma_f32 v8, -v8, v11, v9
	v_div_fmas_f32 v8, v8, v10, v11
	v_mov_b32_e32 v10, 0x260
	v_div_fixup_f32 v8, v8, v7, v6
	v_fma_f32 v8, v8, v8, 1.0
	v_mul_f32_e32 v9, 0x4f800000, v8
	v_cmp_gt_f32_e32 vcc, s2, v8
	v_cndmask_b32_e32 v8, v8, v9, vcc
	v_sqrt_f32_e32 v9, v8
	v_add_u32_e32 v11, -1, v9
	v_add_u32_e32 v12, 1, v9
	v_fma_f32 v13, -v11, v9, v8
	v_fma_f32 v14, -v12, v9, v8
	v_cmp_ge_f32_e64 s[2:3], 0, v13
	v_cndmask_b32_e64 v9, v9, v11, s[2:3]
	v_cmp_lt_f32_e64 s[2:3], 0, v14
	v_cndmask_b32_e64 v9, v9, v12, s[2:3]
	v_mul_f32_e32 v11, 0x37800000, v9
	v_cndmask_b32_e32 v9, v9, v11, vcc
	v_cmp_class_f32_e32 vcc, v8, v10
	v_cndmask_b32_e32 v8, v9, v8, vcc
	v_mul_f32_e32 v8, v7, v8
.LBB11_27:
	s_or_b64 exec, exec, s[22:23]
.LBB11_28:
	s_andn2_saveexec_b64 s[14:15], s[14:15]
	s_cbranch_execz .LBB11_30
; %bb.29:
	v_div_scale_f32 v8, s[2:3], v6, v6, v7
	v_div_scale_f32 v9, vcc, v7, v6, v7
	s_mov_b32 s2, 0xf800000
	v_rcp_f32_e32 v10, v8
	v_fma_f32 v11, -v8, v10, 1.0
	v_fmac_f32_e32 v10, v11, v10
	v_mul_f32_e32 v11, v9, v10
	v_fma_f32 v12, -v8, v11, v9
	v_fmac_f32_e32 v11, v12, v10
	v_fma_f32 v8, -v8, v11, v9
	v_div_fmas_f32 v8, v8, v10, v11
	v_mov_b32_e32 v10, 0x260
	v_div_fixup_f32 v8, v8, v6, v7
	v_fma_f32 v8, v8, v8, 1.0
	v_mul_f32_e32 v9, 0x4f800000, v8
	v_cmp_gt_f32_e32 vcc, s2, v8
	v_cndmask_b32_e32 v8, v8, v9, vcc
	v_sqrt_f32_e32 v9, v8
	v_add_u32_e32 v11, -1, v9
	v_add_u32_e32 v12, 1, v9
	v_fma_f32 v13, -v11, v9, v8
	v_fma_f32 v14, -v12, v9, v8
	v_cmp_ge_f32_e64 s[2:3], 0, v13
	v_cndmask_b32_e64 v9, v9, v11, s[2:3]
	v_cmp_lt_f32_e64 s[2:3], 0, v14
	v_cndmask_b32_e64 v9, v9, v12, s[2:3]
	v_mul_f32_e32 v11, 0x37800000, v9
	v_cndmask_b32_e32 v9, v9, v11, vcc
	v_cmp_class_f32_e32 vcc, v8, v10
	v_cndmask_b32_e32 v8, v9, v8, vcc
	v_mul_f32_e32 v8, v6, v8
.LBB11_30:
	s_or_b64 exec, exec, s[14:15]
	v_cmp_lt_f32_e32 vcc, s25, v8
	s_mov_b64 s[14:15], 0
	s_and_saveexec_b64 s[2:3], vcc
	s_cbranch_execz .LBB11_38
; %bb.31:
                                        ; implicit-def: $vgpr8
	s_and_saveexec_b64 s[14:15], s[0:1]
	s_xor_b64 s[14:15], exec, s[14:15]
	s_cbranch_execz .LBB11_35
; %bb.32:
	v_mov_b32_e32 v8, 0
	v_cmp_neq_f32_e32 vcc, 0, v5
	s_and_saveexec_b64 s[22:23], vcc
	s_cbranch_execz .LBB11_34
; %bb.33:
	v_div_scale_f32 v8, s[0:1], v7, v7, v6
	v_div_scale_f32 v9, vcc, v6, v7, v6
	s_mov_b32 s0, 0xf800000
	v_rcp_f32_e32 v10, v8
	v_fma_f32 v11, -v8, v10, 1.0
	v_fmac_f32_e32 v10, v11, v10
	v_mul_f32_e32 v11, v9, v10
	v_fma_f32 v12, -v8, v11, v9
	v_fmac_f32_e32 v11, v12, v10
	v_fma_f32 v8, -v8, v11, v9
	v_div_fmas_f32 v8, v8, v10, v11
	v_mov_b32_e32 v9, 0x260
	v_div_fixup_f32 v6, v8, v7, v6
	v_fma_f32 v6, v6, v6, 1.0
	v_mul_f32_e32 v8, 0x4f800000, v6
	v_cmp_gt_f32_e32 vcc, s0, v6
	v_cndmask_b32_e32 v6, v6, v8, vcc
	v_sqrt_f32_e32 v8, v6
	v_add_u32_e32 v10, -1, v8
	v_add_u32_e32 v11, 1, v8
	v_fma_f32 v12, -v10, v8, v6
	v_fma_f32 v13, -v11, v8, v6
	v_cmp_ge_f32_e64 s[0:1], 0, v12
	v_cndmask_b32_e64 v8, v8, v10, s[0:1]
	v_cmp_lt_f32_e64 s[0:1], 0, v13
	v_cndmask_b32_e64 v8, v8, v11, s[0:1]
	v_mul_f32_e32 v10, 0x37800000, v8
	v_cndmask_b32_e32 v8, v8, v10, vcc
	v_cmp_class_f32_e32 vcc, v6, v9
	v_cndmask_b32_e32 v6, v8, v6, vcc
	v_mul_f32_e32 v8, v7, v6
.LBB11_34:
	s_or_b64 exec, exec, s[22:23]
                                        ; implicit-def: $vgpr6
                                        ; implicit-def: $vgpr7
.LBB11_35:
	s_andn2_saveexec_b64 s[14:15], s[14:15]
	s_cbranch_execz .LBB11_37
; %bb.36:
	v_div_scale_f32 v8, s[0:1], v6, v6, v7
	v_div_scale_f32 v9, vcc, v7, v6, v7
	s_mov_b32 s0, 0xf800000
	v_rcp_f32_e32 v10, v8
	v_fma_f32 v11, -v8, v10, 1.0
	v_fmac_f32_e32 v10, v11, v10
	v_mul_f32_e32 v11, v9, v10
	v_fma_f32 v12, -v8, v11, v9
	v_fmac_f32_e32 v11, v12, v10
	v_fma_f32 v8, -v8, v11, v9
	v_div_fmas_f32 v8, v8, v10, v11
	v_mov_b32_e32 v9, 0x260
	v_div_fixup_f32 v7, v8, v6, v7
	v_fma_f32 v7, v7, v7, 1.0
	v_mul_f32_e32 v8, 0x4f800000, v7
	v_cmp_gt_f32_e32 vcc, s0, v7
	v_cndmask_b32_e32 v7, v7, v8, vcc
	v_sqrt_f32_e32 v8, v7
	v_add_u32_e32 v10, -1, v8
	v_add_u32_e32 v11, 1, v8
	v_fma_f32 v12, -v10, v8, v7
	v_fma_f32 v13, -v11, v8, v7
	v_cmp_ge_f32_e64 s[0:1], 0, v12
	v_cndmask_b32_e64 v8, v8, v10, s[0:1]
	v_cmp_lt_f32_e64 s[0:1], 0, v13
	v_cndmask_b32_e64 v8, v8, v11, s[0:1]
	v_mul_f32_e32 v10, 0x37800000, v8
	v_cndmask_b32_e32 v8, v8, v10, vcc
	v_cmp_class_f32_e32 vcc, v7, v9
	v_cndmask_b32_e32 v7, v8, v7, vcc
	v_mul_f32_e32 v8, v6, v7
.LBB11_37:
	s_or_b64 exec, exec, s[14:15]
	s_mov_b32 s0, 0x800000
	v_cmp_lt_f32_e32 vcc, s0, v8
	s_and_b64 s[14:15], vcc, exec
.LBB11_38:
	s_or_b64 exec, exec, s[2:3]
	v_cndmask_b32_e64 v6, 0, 1, s[14:15]
	v_cmp_ne_u32_e32 vcc, 0, v6
	s_mov_b64 s[2:3], s[6:7]
	s_and_saveexec_b64 s[0:1], s[14:15]
	s_cbranch_execz .LBB11_42
; %bb.39:
	v_mov_b32_e32 v7, 0
	v_and_b32_e32 v6, vcc_lo, v0
	v_cmp_ne_u64_e32 vcc, 0, v[6:7]
	s_mov_b64 s[14:15], -1
	s_and_saveexec_b64 s[2:3], vcc
	s_xor_b64 s[2:3], exec, s[2:3]
	s_cbranch_execz .LBB11_41
; %bb.40:
	v_bcnt_u32_b32 v10, v6, 0
	v_add_u32_e32 v6, 8, v3
	v_lshlrev_b64 v[8:9], 2, v[6:7]
	v_mov_b32_e32 v0, s19
	v_add_co_u32_e32 v8, vcc, s18, v8
	v_addc_co_u32_e32 v9, vcc, v0, v9, vcc
	v_lshlrev_b64 v[0:1], 2, v[1:2]
	v_mov_b32_e32 v2, s17
	v_add_co_u32_e32 v0, vcc, s16, v0
	v_addc_co_u32_e32 v1, vcc, v2, v1, vcc
	global_load_dword v2, v[0:1], off offset:1024
	global_load_dword v3, v[8:9], off
	v_mov_b32_e32 v8, s9
	v_mov_b32_e32 v9, s11
	s_xor_b64 s[14:15], exec, -1
	s_waitcnt vmcnt(1)
	v_add_u32_e32 v11, s24, v2
	s_waitcnt vmcnt(0)
	v_add3_u32 v6, v10, v3, -1
	v_lshlrev_b64 v[0:1], 3, v[6:7]
	v_lshlrev_b64 v[2:3], 2, v[6:7]
	v_add_co_u32_e32 v0, vcc, s8, v0
	v_addc_co_u32_e32 v1, vcc, v8, v1, vcc
	v_add_co_u32_e32 v2, vcc, s10, v2
	v_addc_co_u32_e32 v3, vcc, v9, v3, vcc
	global_store_dwordx2 v[0:1], v[4:5], off
	global_store_dword v[2:3], v11, off
.LBB11_41:
	s_or_b64 exec, exec, s[2:3]
	s_andn2_b64 s[2:3], s[6:7], exec
	s_and_b64 s[8:9], s[14:15], exec
	s_or_b64 s[2:3], s[2:3], s[8:9]
.LBB11_42:
	s_or_b64 exec, exec, s[0:1]
	s_andn2_b64 s[0:1], s[6:7], exec
	s_and_b64 s[2:3], s[2:3], exec
	s_or_b64 s[0:1], s[0:1], s[2:3]
.LBB11_43:
	s_or_b64 exec, exec, s[12:13]
	s_andn2_b64 s[2:3], s[6:7], exec
	s_and_b64 s[0:1], s[0:1], exec
	s_or_b64 s[6:7], s[2:3], s[0:1]
	s_or_b64 exec, exec, s[20:21]
	s_and_saveexec_b64 s[0:1], s[6:7]
	s_xor_b64 s[0:1], exec, s[0:1]
	s_cbranch_execz .LBB11_3
.LBB11_44:
	s_load_dwordx2 s[2:3], s[4:5], 0x90
	v_mbcnt_lo_u32_b32 v0, -1, 0
	v_mbcnt_hi_u32_b32 v32, -1, v0
	v_readfirstlane_b32 s0, v32
	v_mov_b32_e32 v5, 0
	v_mov_b32_e32 v6, 0
	v_cmp_eq_u32_e64 s[0:1], s0, v32
	s_and_saveexec_b64 s[4:5], s[0:1]
	s_cbranch_execz .LBB11_50
; %bb.45:
	v_mov_b32_e32 v0, 0
	s_waitcnt lgkmcnt(0)
	global_load_dwordx2 v[3:4], v0, s[2:3] offset:24 glc
	s_waitcnt vmcnt(0)
	buffer_wbinvl1_vol
	global_load_dwordx2 v[1:2], v0, s[2:3] offset:40
	global_load_dwordx2 v[5:6], v0, s[2:3]
	s_waitcnt vmcnt(1)
	v_and_b32_e32 v1, v1, v3
	v_and_b32_e32 v2, v2, v4
	v_mul_lo_u32 v2, v2, 24
	v_mul_hi_u32 v7, v1, 24
	v_mul_lo_u32 v1, v1, 24
	v_add_u32_e32 v2, v7, v2
	s_waitcnt vmcnt(0)
	v_add_co_u32_e32 v1, vcc, v5, v1
	v_addc_co_u32_e32 v2, vcc, v6, v2, vcc
	global_load_dwordx2 v[1:2], v[1:2], off glc
	s_waitcnt vmcnt(0)
	global_atomic_cmpswap_x2 v[5:6], v0, v[1:4], s[2:3] offset:24 glc
	s_waitcnt vmcnt(0)
	buffer_wbinvl1_vol
	v_cmp_ne_u64_e32 vcc, v[5:6], v[3:4]
	s_and_saveexec_b64 s[6:7], vcc
	s_cbranch_execz .LBB11_49
; %bb.46:
	s_mov_b64 s[8:9], 0
.LBB11_47:                              ; =>This Inner Loop Header: Depth=1
	s_sleep 1
	global_load_dwordx2 v[1:2], v0, s[2:3] offset:40
	global_load_dwordx2 v[7:8], v0, s[2:3]
	v_mov_b32_e32 v3, v5
	v_mov_b32_e32 v4, v6
	s_waitcnt vmcnt(1)
	v_and_b32_e32 v1, v1, v3
	s_waitcnt vmcnt(0)
	v_mad_u64_u32 v[5:6], s[10:11], v1, 24, v[7:8]
	v_and_b32_e32 v2, v2, v4
	v_mov_b32_e32 v1, v6
	v_mad_u64_u32 v[1:2], s[10:11], v2, 24, v[1:2]
	v_mov_b32_e32 v6, v1
	global_load_dwordx2 v[1:2], v[5:6], off glc
	s_waitcnt vmcnt(0)
	global_atomic_cmpswap_x2 v[5:6], v0, v[1:4], s[2:3] offset:24 glc
	s_waitcnt vmcnt(0)
	buffer_wbinvl1_vol
	v_cmp_eq_u64_e32 vcc, v[5:6], v[3:4]
	s_or_b64 s[8:9], vcc, s[8:9]
	s_andn2_b64 exec, exec, s[8:9]
	s_cbranch_execnz .LBB11_47
; %bb.48:
	s_or_b64 exec, exec, s[8:9]
.LBB11_49:
	s_or_b64 exec, exec, s[6:7]
.LBB11_50:
	s_or_b64 exec, exec, s[4:5]
	v_mov_b32_e32 v4, 0
	s_waitcnt lgkmcnt(0)
	global_load_dwordx2 v[7:8], v4, s[2:3] offset:40
	global_load_dwordx4 v[0:3], v4, s[2:3]
	v_readfirstlane_b32 s5, v6
	v_readfirstlane_b32 s4, v5
	s_mov_b64 s[6:7], exec
	s_waitcnt vmcnt(1)
	v_readfirstlane_b32 s8, v7
	v_readfirstlane_b32 s9, v8
	s_and_b64 s[8:9], s[8:9], s[4:5]
	s_mul_i32 s10, s9, 24
	s_mul_hi_u32 s11, s8, 24
	s_mul_i32 s12, s8, 24
	s_add_i32 s10, s11, s10
	v_mov_b32_e32 v5, s10
	s_waitcnt vmcnt(0)
	v_add_co_u32_e32 v7, vcc, s12, v0
	v_addc_co_u32_e32 v8, vcc, v1, v5, vcc
	s_and_saveexec_b64 s[10:11], s[0:1]
	s_cbranch_execz .LBB11_52
; %bb.51:
	v_mov_b32_e32 v10, s7
	v_mov_b32_e32 v9, s6
	;; [unrolled: 1-line block ×4, first 2 shown]
	global_store_dwordx4 v[7:8], v[9:12], off offset:8
.LBB11_52:
	s_or_b64 exec, exec, s[10:11]
	s_lshl_b64 s[6:7], s[8:9], 12
	v_mov_b32_e32 v5, s7
	v_add_co_u32_e32 v2, vcc, s6, v2
	v_addc_co_u32_e32 v11, vcc, v3, v5, vcc
	v_lshlrev_b32_e32 v31, 6, v32
	s_mov_b32 s8, 0
	v_mov_b32_e32 v3, 33
	v_mov_b32_e32 v5, v4
	;; [unrolled: 1-line block ×3, first 2 shown]
	v_readfirstlane_b32 s6, v2
	v_readfirstlane_b32 s7, v11
	v_add_co_u32_e32 v9, vcc, v2, v31
	s_mov_b32 s9, s8
	s_mov_b32 s10, s8
	;; [unrolled: 1-line block ×3, first 2 shown]
	s_nop 0
	global_store_dwordx4 v31, v[3:6], s[6:7]
	v_mov_b32_e32 v2, s8
	v_addc_co_u32_e32 v10, vcc, 0, v11, vcc
	v_mov_b32_e32 v3, s9
	v_mov_b32_e32 v4, s10
	;; [unrolled: 1-line block ×3, first 2 shown]
	global_store_dwordx4 v31, v[2:5], s[6:7] offset:16
	global_store_dwordx4 v31, v[2:5], s[6:7] offset:32
	;; [unrolled: 1-line block ×3, first 2 shown]
	s_and_saveexec_b64 s[6:7], s[0:1]
	s_cbranch_execz .LBB11_60
; %bb.53:
	v_mov_b32_e32 v6, 0
	global_load_dwordx2 v[13:14], v6, s[2:3] offset:32 glc
	global_load_dwordx2 v[2:3], v6, s[2:3] offset:40
	v_mov_b32_e32 v11, s4
	v_mov_b32_e32 v12, s5
	s_waitcnt vmcnt(0)
	v_and_b32_e32 v2, s4, v2
	v_and_b32_e32 v3, s5, v3
	v_mul_lo_u32 v3, v3, 24
	v_mul_hi_u32 v4, v2, 24
	v_mul_lo_u32 v2, v2, 24
	v_add_u32_e32 v3, v4, v3
	v_add_co_u32_e32 v4, vcc, v0, v2
	v_addc_co_u32_e32 v5, vcc, v1, v3, vcc
	global_store_dwordx2 v[4:5], v[13:14], off
	s_waitcnt vmcnt(0)
	global_atomic_cmpswap_x2 v[2:3], v6, v[11:14], s[2:3] offset:32 glc
	s_waitcnt vmcnt(0)
	v_cmp_ne_u64_e32 vcc, v[2:3], v[13:14]
	s_and_saveexec_b64 s[8:9], vcc
	s_cbranch_execz .LBB11_56
; %bb.54:
	s_mov_b64 s[10:11], 0
.LBB11_55:                              ; =>This Inner Loop Header: Depth=1
	s_sleep 1
	global_store_dwordx2 v[4:5], v[2:3], off
	v_mov_b32_e32 v0, s4
	v_mov_b32_e32 v1, s5
	s_waitcnt vmcnt(0)
	global_atomic_cmpswap_x2 v[0:1], v6, v[0:3], s[2:3] offset:32 glc
	s_waitcnt vmcnt(0)
	v_cmp_eq_u64_e32 vcc, v[0:1], v[2:3]
	v_mov_b32_e32 v3, v1
	s_or_b64 s[10:11], vcc, s[10:11]
	v_mov_b32_e32 v2, v0
	s_andn2_b64 exec, exec, s[10:11]
	s_cbranch_execnz .LBB11_55
.LBB11_56:
	s_or_b64 exec, exec, s[8:9]
	v_mov_b32_e32 v3, 0
	global_load_dwordx2 v[0:1], v3, s[2:3] offset:16
	s_mov_b64 s[8:9], exec
	v_mbcnt_lo_u32_b32 v2, s8, 0
	v_mbcnt_hi_u32_b32 v2, s9, v2
	v_cmp_eq_u32_e32 vcc, 0, v2
	s_and_saveexec_b64 s[10:11], vcc
	s_cbranch_execz .LBB11_58
; %bb.57:
	s_bcnt1_i32_b64 s8, s[8:9]
	v_mov_b32_e32 v2, s8
	s_waitcnt vmcnt(0)
	global_atomic_add_x2 v[0:1], v[2:3], off offset:8
.LBB11_58:
	s_or_b64 exec, exec, s[10:11]
	s_waitcnt vmcnt(0)
	global_load_dwordx2 v[2:3], v[0:1], off offset:16
	s_waitcnt vmcnt(0)
	v_cmp_eq_u64_e32 vcc, 0, v[2:3]
	s_cbranch_vccnz .LBB11_60
; %bb.59:
	global_load_dword v0, v[0:1], off offset:24
	v_mov_b32_e32 v1, 0
	s_waitcnt vmcnt(0)
	v_readfirstlane_b32 s8, v0
	s_and_b32 m0, s8, 0xffffff
	global_store_dwordx2 v[2:3], v[0:1], off
	s_sendmsg sendmsg(MSG_INTERRUPT)
.LBB11_60:
	s_or_b64 exec, exec, s[6:7]
	s_branch .LBB11_64
.LBB11_61:                              ;   in Loop: Header=BB11_64 Depth=1
	s_or_b64 exec, exec, s[6:7]
	v_readfirstlane_b32 s6, v0
	s_cmp_eq_u32 s6, 0
	s_cbranch_scc1 .LBB11_63
; %bb.62:                               ;   in Loop: Header=BB11_64 Depth=1
	s_sleep 1
	s_cbranch_execnz .LBB11_64
	s_branch .LBB11_66
.LBB11_63:
	s_branch .LBB11_66
.LBB11_64:                              ; =>This Inner Loop Header: Depth=1
	v_mov_b32_e32 v0, 1
	s_and_saveexec_b64 s[6:7], s[0:1]
	s_cbranch_execz .LBB11_61
; %bb.65:                               ;   in Loop: Header=BB11_64 Depth=1
	global_load_dword v0, v[7:8], off offset:20 glc
	s_waitcnt vmcnt(0)
	buffer_wbinvl1_vol
	v_and_b32_e32 v0, 1, v0
	s_branch .LBB11_61
.LBB11_66:
	global_load_dwordx2 v[0:1], v[9:10], off
	s_and_saveexec_b64 s[6:7], s[0:1]
	s_cbranch_execz .LBB11_69
; %bb.67:
	v_mov_b32_e32 v8, 0
	global_load_dwordx2 v[2:3], v8, s[2:3] offset:40
	global_load_dwordx2 v[11:12], v8, s[2:3] offset:24 glc
	global_load_dwordx2 v[4:5], v8, s[2:3]
	s_waitcnt vmcnt(2)
	v_readfirstlane_b32 s8, v2
	v_readfirstlane_b32 s9, v3
	s_add_u32 s10, s8, 1
	s_addc_u32 s11, s9, 0
	s_add_u32 s0, s10, s4
	s_addc_u32 s1, s11, s5
	s_cmp_eq_u64 s[0:1], 0
	s_cselect_b32 s1, s11, s1
	s_cselect_b32 s0, s10, s0
	s_and_b64 s[4:5], s[0:1], s[8:9]
	s_mul_i32 s5, s5, 24
	s_mul_hi_u32 s8, s4, 24
	s_mul_i32 s4, s4, 24
	s_add_i32 s5, s8, s5
	v_mov_b32_e32 v2, s5
	s_waitcnt vmcnt(0)
	v_add_co_u32_e32 v6, vcc, s4, v4
	v_addc_co_u32_e32 v7, vcc, v5, v2, vcc
	v_mov_b32_e32 v9, s0
	global_store_dwordx2 v[6:7], v[11:12], off
	v_mov_b32_e32 v10, s1
	s_waitcnt vmcnt(0)
	global_atomic_cmpswap_x2 v[4:5], v8, v[9:12], s[2:3] offset:24 glc
	s_mov_b64 s[4:5], 0
	s_waitcnt vmcnt(0)
	v_cmp_ne_u64_e32 vcc, v[4:5], v[11:12]
	s_and_b64 exec, exec, vcc
	s_cbranch_execz .LBB11_69
.LBB11_68:                              ; =>This Inner Loop Header: Depth=1
	s_sleep 1
	global_store_dwordx2 v[6:7], v[4:5], off
	v_mov_b32_e32 v2, s0
	v_mov_b32_e32 v3, s1
	s_waitcnt vmcnt(0)
	global_atomic_cmpswap_x2 v[2:3], v8, v[2:5], s[2:3] offset:24 glc
	s_waitcnt vmcnt(0)
	v_cmp_eq_u64_e32 vcc, v[2:3], v[4:5]
	v_mov_b32_e32 v5, v3
	s_or_b64 s[4:5], vcc, s[4:5]
	v_mov_b32_e32 v4, v2
	s_andn2_b64 exec, exec, s[4:5]
	s_cbranch_execnz .LBB11_68
.LBB11_69:
	s_or_b64 exec, exec, s[6:7]
	s_getpc_b64 s[4:5]
	s_add_u32 s4, s4, .str.2@rel32@lo+4
	s_addc_u32 s5, s5, .str.2@rel32@hi+12
	s_cmp_lg_u64 s[4:5], 0
	s_cselect_b64 s[0:1], -1, 0
	s_cmp_eq_u64 s[4:5], 0
	s_mov_b64 s[4:5], 0
	s_cbranch_scc1 .LBB11_73
; %bb.70:
	v_mov_b32_e32 v2, 0
	s_getpc_b64 s[4:5]
	s_add_u32 s4, s4, .str.2@rel32@lo+3
	s_addc_u32 s5, s5, .str.2@rel32@hi+11
.LBB11_71:                              ; =>This Inner Loop Header: Depth=1
	global_load_ubyte v3, v2, s[4:5] offset:1
	s_add_u32 s6, s4, 1
	s_addc_u32 s7, s5, 0
	s_mov_b64 s[4:5], s[6:7]
	s_waitcnt vmcnt(0)
	v_cmp_ne_u32_e32 vcc, 0, v3
	s_cbranch_vccnz .LBB11_71
; %bb.72:
	s_getpc_b64 s[4:5]
	s_add_u32 s4, s4, .str.2@rel32@lo+4
	s_addc_u32 s5, s5, .str.2@rel32@hi+12
	s_sub_u32 s4, s6, s4
	s_subb_u32 s5, s7, s5
	s_add_u32 s4, s4, 1
	s_addc_u32 s5, s5, 0
.LBB11_73:
	s_and_b64 vcc, exec, s[0:1]
	s_cbranch_vccz .LBB11_158
; %bb.74:
	s_waitcnt vmcnt(0)
	v_and_b32_e32 v33, 2, v0
	v_mov_b32_e32 v28, 0
	v_and_b32_e32 v4, -3, v0
	v_mov_b32_e32 v5, v1
	v_mov_b32_e32 v10, 2
	;; [unrolled: 1-line block ×3, first 2 shown]
	s_getpc_b64 s[6:7]
	s_add_u32 s6, s6, .str.2@rel32@lo+4
	s_addc_u32 s7, s7, .str.2@rel32@hi+12
	s_branch .LBB11_76
.LBB11_75:                              ;   in Loop: Header=BB11_76 Depth=1
	s_or_b64 exec, exec, s[12:13]
	s_sub_u32 s4, s4, s8
	s_subb_u32 s5, s5, s9
	s_add_u32 s6, s6, s8
	s_addc_u32 s7, s7, s9
	s_cmp_lg_u64 s[4:5], 0
	s_cbranch_scc0 .LBB11_159
.LBB11_76:                              ; =>This Loop Header: Depth=1
                                        ;     Child Loop BB11_79 Depth 2
                                        ;     Child Loop BB11_87 Depth 2
	;; [unrolled: 1-line block ×11, first 2 shown]
	v_cmp_lt_u64_e64 s[0:1], s[4:5], 56
	v_cmp_gt_u64_e64 s[10:11], s[4:5], 7
	s_and_b64 s[0:1], s[0:1], exec
	s_cselect_b32 s9, s5, 0
	s_cselect_b32 s8, s4, 56
	s_add_u32 s0, s6, 8
	s_addc_u32 s1, s7, 0
	s_and_b64 vcc, exec, s[10:11]
	s_cbranch_vccnz .LBB11_80
; %bb.77:                               ;   in Loop: Header=BB11_76 Depth=1
	s_cmp_eq_u64 s[4:5], 0
	s_cbranch_scc1 .LBB11_81
; %bb.78:                               ;   in Loop: Header=BB11_76 Depth=1
	v_mov_b32_e32 v6, 0
	s_lshl_b64 s[0:1], s[8:9], 3
	s_mov_b64 s[10:11], 0
	v_mov_b32_e32 v7, 0
	s_mov_b64 s[12:13], s[6:7]
.LBB11_79:                              ;   Parent Loop BB11_76 Depth=1
                                        ; =>  This Inner Loop Header: Depth=2
	global_load_ubyte v2, v28, s[12:13]
	s_waitcnt vmcnt(0)
	v_and_b32_e32 v27, 0xffff, v2
	v_lshlrev_b64 v[2:3], s10, v[27:28]
	s_add_u32 s10, s10, 8
	s_addc_u32 s11, s11, 0
	s_add_u32 s12, s12, 1
	s_addc_u32 s13, s13, 0
	v_or_b32_e32 v6, v2, v6
	s_cmp_lg_u32 s0, s10
	v_or_b32_e32 v7, v3, v7
	s_cbranch_scc1 .LBB11_79
	s_branch .LBB11_82
.LBB11_80:                              ;   in Loop: Header=BB11_76 Depth=1
	s_mov_b32 s14, 0
	s_branch .LBB11_83
.LBB11_81:                              ;   in Loop: Header=BB11_76 Depth=1
	v_mov_b32_e32 v6, 0
	v_mov_b32_e32 v7, 0
.LBB11_82:                              ;   in Loop: Header=BB11_76 Depth=1
	s_mov_b64 s[0:1], s[6:7]
	s_mov_b32 s14, 0
	s_cbranch_execnz .LBB11_84
.LBB11_83:                              ;   in Loop: Header=BB11_76 Depth=1
	global_load_dwordx2 v[6:7], v28, s[6:7]
	s_add_i32 s14, s8, -8
.LBB11_84:                              ;   in Loop: Header=BB11_76 Depth=1
	s_add_u32 s10, s0, 8
	s_addc_u32 s11, s1, 0
	s_cmp_gt_u32 s14, 7
	s_cbranch_scc1 .LBB11_88
; %bb.85:                               ;   in Loop: Header=BB11_76 Depth=1
	s_cmp_eq_u32 s14, 0
	s_cbranch_scc1 .LBB11_89
; %bb.86:                               ;   in Loop: Header=BB11_76 Depth=1
	v_mov_b32_e32 v12, 0
	s_mov_b64 s[10:11], 0
	v_mov_b32_e32 v13, 0
	s_mov_b64 s[12:13], 0
.LBB11_87:                              ;   Parent Loop BB11_76 Depth=1
                                        ; =>  This Inner Loop Header: Depth=2
	s_add_u32 s16, s0, s12
	s_addc_u32 s17, s1, s13
	global_load_ubyte v2, v28, s[16:17]
	s_add_u32 s12, s12, 1
	s_addc_u32 s13, s13, 0
	s_waitcnt vmcnt(0)
	v_and_b32_e32 v27, 0xffff, v2
	v_lshlrev_b64 v[2:3], s10, v[27:28]
	s_add_u32 s10, s10, 8
	s_addc_u32 s11, s11, 0
	v_or_b32_e32 v12, v2, v12
	s_cmp_lg_u32 s14, s12
	v_or_b32_e32 v13, v3, v13
	s_cbranch_scc1 .LBB11_87
	s_branch .LBB11_90
.LBB11_88:                              ;   in Loop: Header=BB11_76 Depth=1
                                        ; implicit-def: $vgpr12_vgpr13
	s_mov_b32 s15, 0
	s_branch .LBB11_91
.LBB11_89:                              ;   in Loop: Header=BB11_76 Depth=1
	v_mov_b32_e32 v12, 0
	v_mov_b32_e32 v13, 0
.LBB11_90:                              ;   in Loop: Header=BB11_76 Depth=1
	s_mov_b64 s[10:11], s[0:1]
	s_mov_b32 s15, 0
	s_cbranch_execnz .LBB11_92
.LBB11_91:                              ;   in Loop: Header=BB11_76 Depth=1
	global_load_dwordx2 v[12:13], v28, s[0:1]
	s_add_i32 s15, s14, -8
.LBB11_92:                              ;   in Loop: Header=BB11_76 Depth=1
	s_add_u32 s0, s10, 8
	s_addc_u32 s1, s11, 0
	s_cmp_gt_u32 s15, 7
	s_cbranch_scc1 .LBB11_96
; %bb.93:                               ;   in Loop: Header=BB11_76 Depth=1
	s_cmp_eq_u32 s15, 0
	s_cbranch_scc1 .LBB11_97
; %bb.94:                               ;   in Loop: Header=BB11_76 Depth=1
	v_mov_b32_e32 v14, 0
	s_mov_b64 s[0:1], 0
	v_mov_b32_e32 v15, 0
	s_mov_b64 s[12:13], 0
.LBB11_95:                              ;   Parent Loop BB11_76 Depth=1
                                        ; =>  This Inner Loop Header: Depth=2
	s_add_u32 s16, s10, s12
	s_addc_u32 s17, s11, s13
	global_load_ubyte v2, v28, s[16:17]
	s_add_u32 s12, s12, 1
	s_addc_u32 s13, s13, 0
	s_waitcnt vmcnt(0)
	v_and_b32_e32 v27, 0xffff, v2
	v_lshlrev_b64 v[2:3], s0, v[27:28]
	s_add_u32 s0, s0, 8
	s_addc_u32 s1, s1, 0
	v_or_b32_e32 v14, v2, v14
	s_cmp_lg_u32 s15, s12
	v_or_b32_e32 v15, v3, v15
	s_cbranch_scc1 .LBB11_95
	s_branch .LBB11_98
.LBB11_96:                              ;   in Loop: Header=BB11_76 Depth=1
	s_mov_b32 s14, 0
	s_branch .LBB11_99
.LBB11_97:                              ;   in Loop: Header=BB11_76 Depth=1
	v_mov_b32_e32 v14, 0
	v_mov_b32_e32 v15, 0
.LBB11_98:                              ;   in Loop: Header=BB11_76 Depth=1
	s_mov_b64 s[0:1], s[10:11]
	s_mov_b32 s14, 0
	s_cbranch_execnz .LBB11_100
.LBB11_99:                              ;   in Loop: Header=BB11_76 Depth=1
	global_load_dwordx2 v[14:15], v28, s[10:11]
	s_add_i32 s14, s15, -8
.LBB11_100:                             ;   in Loop: Header=BB11_76 Depth=1
	s_add_u32 s10, s0, 8
	s_addc_u32 s11, s1, 0
	s_cmp_gt_u32 s14, 7
	s_cbranch_scc1 .LBB11_104
; %bb.101:                              ;   in Loop: Header=BB11_76 Depth=1
	s_cmp_eq_u32 s14, 0
	s_cbranch_scc1 .LBB11_105
; %bb.102:                              ;   in Loop: Header=BB11_76 Depth=1
	v_mov_b32_e32 v16, 0
	s_mov_b64 s[10:11], 0
	v_mov_b32_e32 v17, 0
	s_mov_b64 s[12:13], 0
.LBB11_103:                             ;   Parent Loop BB11_76 Depth=1
                                        ; =>  This Inner Loop Header: Depth=2
	s_add_u32 s16, s0, s12
	s_addc_u32 s17, s1, s13
	global_load_ubyte v2, v28, s[16:17]
	s_add_u32 s12, s12, 1
	s_addc_u32 s13, s13, 0
	s_waitcnt vmcnt(0)
	v_and_b32_e32 v27, 0xffff, v2
	v_lshlrev_b64 v[2:3], s10, v[27:28]
	s_add_u32 s10, s10, 8
	s_addc_u32 s11, s11, 0
	v_or_b32_e32 v16, v2, v16
	s_cmp_lg_u32 s14, s12
	v_or_b32_e32 v17, v3, v17
	s_cbranch_scc1 .LBB11_103
	s_branch .LBB11_106
.LBB11_104:                             ;   in Loop: Header=BB11_76 Depth=1
                                        ; implicit-def: $vgpr16_vgpr17
	s_mov_b32 s15, 0
	s_branch .LBB11_107
.LBB11_105:                             ;   in Loop: Header=BB11_76 Depth=1
	v_mov_b32_e32 v16, 0
	v_mov_b32_e32 v17, 0
.LBB11_106:                             ;   in Loop: Header=BB11_76 Depth=1
	s_mov_b64 s[10:11], s[0:1]
	s_mov_b32 s15, 0
	s_cbranch_execnz .LBB11_108
.LBB11_107:                             ;   in Loop: Header=BB11_76 Depth=1
	global_load_dwordx2 v[16:17], v28, s[0:1]
	s_add_i32 s15, s14, -8
.LBB11_108:                             ;   in Loop: Header=BB11_76 Depth=1
	s_add_u32 s0, s10, 8
	s_addc_u32 s1, s11, 0
	s_cmp_gt_u32 s15, 7
	s_cbranch_scc1 .LBB11_112
; %bb.109:                              ;   in Loop: Header=BB11_76 Depth=1
	s_cmp_eq_u32 s15, 0
	s_cbranch_scc1 .LBB11_113
; %bb.110:                              ;   in Loop: Header=BB11_76 Depth=1
	v_mov_b32_e32 v18, 0
	s_mov_b64 s[0:1], 0
	v_mov_b32_e32 v19, 0
	s_mov_b64 s[12:13], 0
.LBB11_111:                             ;   Parent Loop BB11_76 Depth=1
                                        ; =>  This Inner Loop Header: Depth=2
	s_add_u32 s16, s10, s12
	s_addc_u32 s17, s11, s13
	global_load_ubyte v2, v28, s[16:17]
	s_add_u32 s12, s12, 1
	s_addc_u32 s13, s13, 0
	s_waitcnt vmcnt(0)
	v_and_b32_e32 v27, 0xffff, v2
	v_lshlrev_b64 v[2:3], s0, v[27:28]
	s_add_u32 s0, s0, 8
	s_addc_u32 s1, s1, 0
	v_or_b32_e32 v18, v2, v18
	s_cmp_lg_u32 s15, s12
	v_or_b32_e32 v19, v3, v19
	s_cbranch_scc1 .LBB11_111
	s_branch .LBB11_114
.LBB11_112:                             ;   in Loop: Header=BB11_76 Depth=1
	s_mov_b32 s14, 0
	s_branch .LBB11_115
.LBB11_113:                             ;   in Loop: Header=BB11_76 Depth=1
	v_mov_b32_e32 v18, 0
	v_mov_b32_e32 v19, 0
.LBB11_114:                             ;   in Loop: Header=BB11_76 Depth=1
	s_mov_b64 s[0:1], s[10:11]
	s_mov_b32 s14, 0
	s_cbranch_execnz .LBB11_116
.LBB11_115:                             ;   in Loop: Header=BB11_76 Depth=1
	global_load_dwordx2 v[18:19], v28, s[10:11]
	s_add_i32 s14, s15, -8
.LBB11_116:                             ;   in Loop: Header=BB11_76 Depth=1
	s_add_u32 s10, s0, 8
	s_addc_u32 s11, s1, 0
	s_cmp_gt_u32 s14, 7
	s_cbranch_scc1 .LBB11_120
; %bb.117:                              ;   in Loop: Header=BB11_76 Depth=1
	s_cmp_eq_u32 s14, 0
	s_cbranch_scc1 .LBB11_121
; %bb.118:                              ;   in Loop: Header=BB11_76 Depth=1
	v_mov_b32_e32 v20, 0
	s_mov_b64 s[10:11], 0
	v_mov_b32_e32 v21, 0
	s_mov_b64 s[12:13], 0
.LBB11_119:                             ;   Parent Loop BB11_76 Depth=1
                                        ; =>  This Inner Loop Header: Depth=2
	s_add_u32 s16, s0, s12
	s_addc_u32 s17, s1, s13
	global_load_ubyte v2, v28, s[16:17]
	s_add_u32 s12, s12, 1
	s_addc_u32 s13, s13, 0
	s_waitcnt vmcnt(0)
	v_and_b32_e32 v27, 0xffff, v2
	v_lshlrev_b64 v[2:3], s10, v[27:28]
	s_add_u32 s10, s10, 8
	s_addc_u32 s11, s11, 0
	v_or_b32_e32 v20, v2, v20
	s_cmp_lg_u32 s14, s12
	v_or_b32_e32 v21, v3, v21
	s_cbranch_scc1 .LBB11_119
	s_branch .LBB11_122
.LBB11_120:                             ;   in Loop: Header=BB11_76 Depth=1
                                        ; implicit-def: $vgpr20_vgpr21
	s_mov_b32 s15, 0
	s_branch .LBB11_123
.LBB11_121:                             ;   in Loop: Header=BB11_76 Depth=1
	v_mov_b32_e32 v20, 0
	v_mov_b32_e32 v21, 0
.LBB11_122:                             ;   in Loop: Header=BB11_76 Depth=1
	s_mov_b64 s[10:11], s[0:1]
	s_mov_b32 s15, 0
	s_cbranch_execnz .LBB11_124
.LBB11_123:                             ;   in Loop: Header=BB11_76 Depth=1
	global_load_dwordx2 v[20:21], v28, s[0:1]
	s_add_i32 s15, s14, -8
.LBB11_124:                             ;   in Loop: Header=BB11_76 Depth=1
	s_cmp_gt_u32 s15, 7
	s_cbranch_scc1 .LBB11_128
; %bb.125:                              ;   in Loop: Header=BB11_76 Depth=1
	s_cmp_eq_u32 s15, 0
	s_cbranch_scc1 .LBB11_129
; %bb.126:                              ;   in Loop: Header=BB11_76 Depth=1
	v_mov_b32_e32 v22, 0
	s_mov_b64 s[0:1], 0
	v_mov_b32_e32 v23, 0
	s_mov_b64 s[12:13], s[10:11]
.LBB11_127:                             ;   Parent Loop BB11_76 Depth=1
                                        ; =>  This Inner Loop Header: Depth=2
	global_load_ubyte v2, v28, s[12:13]
	s_add_i32 s15, s15, -1
	s_waitcnt vmcnt(0)
	v_and_b32_e32 v27, 0xffff, v2
	v_lshlrev_b64 v[2:3], s0, v[27:28]
	s_add_u32 s0, s0, 8
	s_addc_u32 s1, s1, 0
	s_add_u32 s12, s12, 1
	s_addc_u32 s13, s13, 0
	v_or_b32_e32 v22, v2, v22
	s_cmp_lg_u32 s15, 0
	v_or_b32_e32 v23, v3, v23
	s_cbranch_scc1 .LBB11_127
	s_branch .LBB11_130
.LBB11_128:                             ;   in Loop: Header=BB11_76 Depth=1
	s_branch .LBB11_131
.LBB11_129:                             ;   in Loop: Header=BB11_76 Depth=1
	v_mov_b32_e32 v22, 0
	v_mov_b32_e32 v23, 0
.LBB11_130:                             ;   in Loop: Header=BB11_76 Depth=1
	s_cbranch_execnz .LBB11_132
.LBB11_131:                             ;   in Loop: Header=BB11_76 Depth=1
	global_load_dwordx2 v[22:23], v28, s[10:11]
.LBB11_132:                             ;   in Loop: Header=BB11_76 Depth=1
	v_readfirstlane_b32 s0, v32
	v_mov_b32_e32 v2, 0
	v_mov_b32_e32 v3, 0
	v_cmp_eq_u32_e64 s[0:1], s0, v32
	s_and_saveexec_b64 s[10:11], s[0:1]
	s_cbranch_execz .LBB11_138
; %bb.133:                              ;   in Loop: Header=BB11_76 Depth=1
	global_load_dwordx2 v[26:27], v28, s[2:3] offset:24 glc
	s_waitcnt vmcnt(0)
	buffer_wbinvl1_vol
	global_load_dwordx2 v[2:3], v28, s[2:3] offset:40
	global_load_dwordx2 v[8:9], v28, s[2:3]
	s_waitcnt vmcnt(1)
	v_and_b32_e32 v2, v2, v26
	v_and_b32_e32 v3, v3, v27
	v_mul_lo_u32 v3, v3, 24
	v_mul_hi_u32 v24, v2, 24
	v_mul_lo_u32 v2, v2, 24
	v_add_u32_e32 v3, v24, v3
	s_waitcnt vmcnt(0)
	v_add_co_u32_e32 v2, vcc, v8, v2
	v_addc_co_u32_e32 v3, vcc, v9, v3, vcc
	global_load_dwordx2 v[24:25], v[2:3], off glc
	s_waitcnt vmcnt(0)
	global_atomic_cmpswap_x2 v[2:3], v28, v[24:27], s[2:3] offset:24 glc
	s_waitcnt vmcnt(0)
	buffer_wbinvl1_vol
	v_cmp_ne_u64_e32 vcc, v[2:3], v[26:27]
	s_and_saveexec_b64 s[12:13], vcc
	s_cbranch_execz .LBB11_137
; %bb.134:                              ;   in Loop: Header=BB11_76 Depth=1
	s_mov_b64 s[14:15], 0
.LBB11_135:                             ;   Parent Loop BB11_76 Depth=1
                                        ; =>  This Inner Loop Header: Depth=2
	s_sleep 1
	global_load_dwordx2 v[8:9], v28, s[2:3] offset:40
	global_load_dwordx2 v[24:25], v28, s[2:3]
	v_mov_b32_e32 v27, v3
	v_mov_b32_e32 v26, v2
	s_waitcnt vmcnt(1)
	v_and_b32_e32 v2, v8, v26
	s_waitcnt vmcnt(0)
	v_mad_u64_u32 v[2:3], s[16:17], v2, 24, v[24:25]
	v_and_b32_e32 v8, v9, v27
	v_mad_u64_u32 v[8:9], s[16:17], v8, 24, v[3:4]
	v_mov_b32_e32 v3, v8
	global_load_dwordx2 v[24:25], v[2:3], off glc
	s_waitcnt vmcnt(0)
	global_atomic_cmpswap_x2 v[2:3], v28, v[24:27], s[2:3] offset:24 glc
	s_waitcnt vmcnt(0)
	buffer_wbinvl1_vol
	v_cmp_eq_u64_e32 vcc, v[2:3], v[26:27]
	s_or_b64 s[14:15], vcc, s[14:15]
	s_andn2_b64 exec, exec, s[14:15]
	s_cbranch_execnz .LBB11_135
; %bb.136:                              ;   in Loop: Header=BB11_76 Depth=1
	s_or_b64 exec, exec, s[14:15]
.LBB11_137:                             ;   in Loop: Header=BB11_76 Depth=1
	s_or_b64 exec, exec, s[12:13]
.LBB11_138:                             ;   in Loop: Header=BB11_76 Depth=1
	s_or_b64 exec, exec, s[10:11]
	global_load_dwordx2 v[8:9], v28, s[2:3] offset:40
	global_load_dwordx4 v[24:27], v28, s[2:3]
	v_readfirstlane_b32 s11, v3
	v_readfirstlane_b32 s10, v2
	s_mov_b64 s[12:13], exec
	s_waitcnt vmcnt(1)
	v_readfirstlane_b32 s14, v8
	v_readfirstlane_b32 s15, v9
	s_and_b64 s[14:15], s[14:15], s[10:11]
	s_mul_i32 s16, s15, 24
	s_mul_hi_u32 s17, s14, 24
	s_mul_i32 s18, s14, 24
	s_add_i32 s16, s17, s16
	v_mov_b32_e32 v2, s16
	s_waitcnt vmcnt(0)
	v_add_co_u32_e32 v29, vcc, s18, v24
	v_addc_co_u32_e32 v30, vcc, v25, v2, vcc
	s_and_saveexec_b64 s[16:17], s[0:1]
	s_cbranch_execz .LBB11_140
; %bb.139:                              ;   in Loop: Header=BB11_76 Depth=1
	v_mov_b32_e32 v8, s12
	v_mov_b32_e32 v9, s13
	global_store_dwordx4 v[29:30], v[8:11], off offset:8
.LBB11_140:                             ;   in Loop: Header=BB11_76 Depth=1
	s_or_b64 exec, exec, s[16:17]
	s_lshl_b64 s[12:13], s[14:15], 12
	v_mov_b32_e32 v2, s13
	v_add_co_u32_e32 v8, vcc, s12, v26
	v_addc_co_u32_e32 v9, vcc, v27, v2, vcc
	v_cmp_lt_u64_e64 vcc, s[4:5], 57
	s_lshl_b32 s12, s8, 2
	v_cndmask_b32_e32 v2, 0, v33, vcc
	s_add_i32 s12, s12, 28
	v_and_b32_e32 v3, 0xffffff1f, v4
	s_and_b32 s12, s12, 0x1e0
	v_or_b32_e32 v2, v3, v2
	v_or_b32_e32 v4, s12, v2
	v_readfirstlane_b32 s12, v8
	v_readfirstlane_b32 s13, v9
	s_nop 4
	global_store_dwordx4 v31, v[4:7], s[12:13]
	global_store_dwordx4 v31, v[12:15], s[12:13] offset:16
	global_store_dwordx4 v31, v[16:19], s[12:13] offset:32
	;; [unrolled: 1-line block ×3, first 2 shown]
	s_and_saveexec_b64 s[12:13], s[0:1]
	s_cbranch_execz .LBB11_148
; %bb.141:                              ;   in Loop: Header=BB11_76 Depth=1
	global_load_dwordx2 v[14:15], v28, s[2:3] offset:32 glc
	global_load_dwordx2 v[2:3], v28, s[2:3] offset:40
	v_mov_b32_e32 v12, s10
	v_mov_b32_e32 v13, s11
	s_waitcnt vmcnt(0)
	v_readfirstlane_b32 s14, v2
	v_readfirstlane_b32 s15, v3
	s_and_b64 s[14:15], s[14:15], s[10:11]
	s_mul_i32 s15, s15, 24
	s_mul_hi_u32 s16, s14, 24
	s_mul_i32 s14, s14, 24
	s_add_i32 s15, s16, s15
	v_mov_b32_e32 v2, s15
	v_add_co_u32_e32 v6, vcc, s14, v24
	v_addc_co_u32_e32 v7, vcc, v25, v2, vcc
	global_store_dwordx2 v[6:7], v[14:15], off
	s_waitcnt vmcnt(0)
	global_atomic_cmpswap_x2 v[4:5], v28, v[12:15], s[2:3] offset:32 glc
	s_waitcnt vmcnt(0)
	v_cmp_ne_u64_e32 vcc, v[4:5], v[14:15]
	s_and_saveexec_b64 s[14:15], vcc
	s_cbranch_execz .LBB11_144
; %bb.142:                              ;   in Loop: Header=BB11_76 Depth=1
	s_mov_b64 s[16:17], 0
.LBB11_143:                             ;   Parent Loop BB11_76 Depth=1
                                        ; =>  This Inner Loop Header: Depth=2
	s_sleep 1
	global_store_dwordx2 v[6:7], v[4:5], off
	v_mov_b32_e32 v2, s10
	v_mov_b32_e32 v3, s11
	s_waitcnt vmcnt(0)
	global_atomic_cmpswap_x2 v[2:3], v28, v[2:5], s[2:3] offset:32 glc
	s_waitcnt vmcnt(0)
	v_cmp_eq_u64_e32 vcc, v[2:3], v[4:5]
	v_mov_b32_e32 v5, v3
	s_or_b64 s[16:17], vcc, s[16:17]
	v_mov_b32_e32 v4, v2
	s_andn2_b64 exec, exec, s[16:17]
	s_cbranch_execnz .LBB11_143
.LBB11_144:                             ;   in Loop: Header=BB11_76 Depth=1
	s_or_b64 exec, exec, s[14:15]
	global_load_dwordx2 v[2:3], v28, s[2:3] offset:16
	s_mov_b64 s[16:17], exec
	v_mbcnt_lo_u32_b32 v4, s16, 0
	v_mbcnt_hi_u32_b32 v4, s17, v4
	v_cmp_eq_u32_e32 vcc, 0, v4
	s_and_saveexec_b64 s[14:15], vcc
	s_cbranch_execz .LBB11_146
; %bb.145:                              ;   in Loop: Header=BB11_76 Depth=1
	s_bcnt1_i32_b64 s16, s[16:17]
	v_mov_b32_e32 v27, s16
	s_waitcnt vmcnt(0)
	global_atomic_add_x2 v[2:3], v[27:28], off offset:8
.LBB11_146:                             ;   in Loop: Header=BB11_76 Depth=1
	s_or_b64 exec, exec, s[14:15]
	s_waitcnt vmcnt(0)
	global_load_dwordx2 v[4:5], v[2:3], off offset:16
	s_waitcnt vmcnt(0)
	v_cmp_eq_u64_e32 vcc, 0, v[4:5]
	s_cbranch_vccnz .LBB11_148
; %bb.147:                              ;   in Loop: Header=BB11_76 Depth=1
	global_load_dword v27, v[2:3], off offset:24
	s_waitcnt vmcnt(0)
	v_readfirstlane_b32 s14, v27
	s_and_b32 m0, s14, 0xffffff
	global_store_dwordx2 v[4:5], v[27:28], off
	s_sendmsg sendmsg(MSG_INTERRUPT)
.LBB11_148:                             ;   in Loop: Header=BB11_76 Depth=1
	s_or_b64 exec, exec, s[12:13]
	v_add_co_u32_e32 v2, vcc, v8, v31
	v_addc_co_u32_e32 v3, vcc, 0, v9, vcc
	s_branch .LBB11_152
.LBB11_149:                             ;   in Loop: Header=BB11_152 Depth=2
	s_or_b64 exec, exec, s[12:13]
	v_readfirstlane_b32 s12, v4
	s_cmp_eq_u32 s12, 0
	s_cbranch_scc1 .LBB11_151
; %bb.150:                              ;   in Loop: Header=BB11_152 Depth=2
	s_sleep 1
	s_cbranch_execnz .LBB11_152
	s_branch .LBB11_154
.LBB11_151:                             ;   in Loop: Header=BB11_76 Depth=1
	s_branch .LBB11_154
.LBB11_152:                             ;   Parent Loop BB11_76 Depth=1
                                        ; =>  This Inner Loop Header: Depth=2
	v_mov_b32_e32 v4, 1
	s_and_saveexec_b64 s[12:13], s[0:1]
	s_cbranch_execz .LBB11_149
; %bb.153:                              ;   in Loop: Header=BB11_152 Depth=2
	global_load_dword v4, v[29:30], off offset:20 glc
	s_waitcnt vmcnt(0)
	buffer_wbinvl1_vol
	v_and_b32_e32 v4, 1, v4
	s_branch .LBB11_149
.LBB11_154:                             ;   in Loop: Header=BB11_76 Depth=1
	global_load_dwordx2 v[4:5], v[2:3], off
	s_and_saveexec_b64 s[12:13], s[0:1]
	s_cbranch_execz .LBB11_75
; %bb.155:                              ;   in Loop: Header=BB11_76 Depth=1
	global_load_dwordx2 v[2:3], v28, s[2:3] offset:40
	global_load_dwordx2 v[14:15], v28, s[2:3] offset:24 glc
	global_load_dwordx2 v[6:7], v28, s[2:3]
	s_waitcnt vmcnt(2)
	v_readfirstlane_b32 s14, v2
	v_readfirstlane_b32 s15, v3
	s_add_u32 s16, s14, 1
	s_addc_u32 s17, s15, 0
	s_add_u32 s0, s16, s10
	s_addc_u32 s1, s17, s11
	s_cmp_eq_u64 s[0:1], 0
	s_cselect_b32 s1, s17, s1
	s_cselect_b32 s0, s16, s0
	s_and_b64 s[10:11], s[0:1], s[14:15]
	s_mul_i32 s11, s11, 24
	s_mul_hi_u32 s14, s10, 24
	s_mul_i32 s10, s10, 24
	s_add_i32 s11, s14, s11
	v_mov_b32_e32 v3, s11
	s_waitcnt vmcnt(0)
	v_add_co_u32_e32 v2, vcc, s10, v6
	v_addc_co_u32_e32 v3, vcc, v7, v3, vcc
	v_mov_b32_e32 v12, s0
	global_store_dwordx2 v[2:3], v[14:15], off
	v_mov_b32_e32 v13, s1
	s_waitcnt vmcnt(0)
	global_atomic_cmpswap_x2 v[8:9], v28, v[12:15], s[2:3] offset:24 glc
	s_waitcnt vmcnt(0)
	v_cmp_ne_u64_e32 vcc, v[8:9], v[14:15]
	s_and_b64 exec, exec, vcc
	s_cbranch_execz .LBB11_75
; %bb.156:                              ;   in Loop: Header=BB11_76 Depth=1
	s_mov_b64 s[10:11], 0
.LBB11_157:                             ;   Parent Loop BB11_76 Depth=1
                                        ; =>  This Inner Loop Header: Depth=2
	s_sleep 1
	global_store_dwordx2 v[2:3], v[8:9], off
	v_mov_b32_e32 v6, s0
	v_mov_b32_e32 v7, s1
	s_waitcnt vmcnt(0)
	global_atomic_cmpswap_x2 v[6:7], v28, v[6:9], s[2:3] offset:24 glc
	s_waitcnt vmcnt(0)
	v_cmp_eq_u64_e32 vcc, v[6:7], v[8:9]
	v_mov_b32_e32 v9, v7
	s_or_b64 s[10:11], vcc, s[10:11]
	v_mov_b32_e32 v8, v6
	s_andn2_b64 exec, exec, s[10:11]
	s_cbranch_execnz .LBB11_157
	s_branch .LBB11_75
.LBB11_158:
	s_mov_b64 s[0:1], -1
                                        ; implicit-def: $vgpr4_vgpr5
	s_branch .LBB11_160
.LBB11_159:
	s_mov_b64 s[0:1], 0
.LBB11_160:
	s_and_b64 vcc, exec, s[0:1]
	s_cbranch_vccz .LBB11_187
; %bb.161:
	v_readfirstlane_b32 s0, v32
	v_mov_b32_e32 v8, 0
	v_mov_b32_e32 v9, 0
	v_cmp_eq_u32_e64 s[0:1], s0, v32
	s_and_saveexec_b64 s[4:5], s[0:1]
	s_cbranch_execz .LBB11_167
; %bb.162:
	v_mov_b32_e32 v2, 0
	global_load_dwordx2 v[5:6], v2, s[2:3] offset:24 glc
	s_waitcnt vmcnt(0)
	buffer_wbinvl1_vol
	global_load_dwordx2 v[3:4], v2, s[2:3] offset:40
	global_load_dwordx2 v[7:8], v2, s[2:3]
	s_waitcnt vmcnt(1)
	v_and_b32_e32 v3, v3, v5
	v_and_b32_e32 v4, v4, v6
	v_mul_lo_u32 v4, v4, 24
	v_mul_hi_u32 v9, v3, 24
	v_mul_lo_u32 v3, v3, 24
	v_add_u32_e32 v4, v9, v4
	s_waitcnt vmcnt(0)
	v_add_co_u32_e32 v3, vcc, v7, v3
	v_addc_co_u32_e32 v4, vcc, v8, v4, vcc
	global_load_dwordx2 v[3:4], v[3:4], off glc
	s_waitcnt vmcnt(0)
	global_atomic_cmpswap_x2 v[8:9], v2, v[3:6], s[2:3] offset:24 glc
	s_waitcnt vmcnt(0)
	buffer_wbinvl1_vol
	v_cmp_ne_u64_e32 vcc, v[8:9], v[5:6]
	s_and_saveexec_b64 s[6:7], vcc
	s_cbranch_execz .LBB11_166
; %bb.163:
	s_mov_b64 s[8:9], 0
.LBB11_164:                             ; =>This Inner Loop Header: Depth=1
	s_sleep 1
	global_load_dwordx2 v[3:4], v2, s[2:3] offset:40
	global_load_dwordx2 v[10:11], v2, s[2:3]
	v_mov_b32_e32 v5, v8
	v_mov_b32_e32 v6, v9
	s_waitcnt vmcnt(1)
	v_and_b32_e32 v3, v3, v5
	s_waitcnt vmcnt(0)
	v_mad_u64_u32 v[7:8], s[10:11], v3, 24, v[10:11]
	v_and_b32_e32 v4, v4, v6
	v_mov_b32_e32 v3, v8
	v_mad_u64_u32 v[3:4], s[10:11], v4, 24, v[3:4]
	v_mov_b32_e32 v8, v3
	global_load_dwordx2 v[3:4], v[7:8], off glc
	s_waitcnt vmcnt(0)
	global_atomic_cmpswap_x2 v[8:9], v2, v[3:6], s[2:3] offset:24 glc
	s_waitcnt vmcnt(0)
	buffer_wbinvl1_vol
	v_cmp_eq_u64_e32 vcc, v[8:9], v[5:6]
	s_or_b64 s[8:9], vcc, s[8:9]
	s_andn2_b64 exec, exec, s[8:9]
	s_cbranch_execnz .LBB11_164
; %bb.165:
	s_or_b64 exec, exec, s[8:9]
.LBB11_166:
	s_or_b64 exec, exec, s[6:7]
.LBB11_167:
	s_or_b64 exec, exec, s[4:5]
	v_mov_b32_e32 v2, 0
	global_load_dwordx2 v[10:11], v2, s[2:3] offset:40
	global_load_dwordx4 v[4:7], v2, s[2:3]
	v_readfirstlane_b32 s5, v9
	v_readfirstlane_b32 s4, v8
	s_mov_b64 s[6:7], exec
	s_waitcnt vmcnt(1)
	v_readfirstlane_b32 s8, v10
	v_readfirstlane_b32 s9, v11
	s_and_b64 s[8:9], s[8:9], s[4:5]
	s_mul_i32 s10, s9, 24
	s_mul_hi_u32 s11, s8, 24
	s_mul_i32 s12, s8, 24
	s_add_i32 s10, s11, s10
	v_mov_b32_e32 v3, s10
	s_waitcnt vmcnt(0)
	v_add_co_u32_e32 v8, vcc, s12, v4
	v_addc_co_u32_e32 v9, vcc, v5, v3, vcc
	s_and_saveexec_b64 s[10:11], s[0:1]
	s_cbranch_execz .LBB11_169
; %bb.168:
	v_mov_b32_e32 v11, s7
	v_mov_b32_e32 v10, s6
	;; [unrolled: 1-line block ×4, first 2 shown]
	global_store_dwordx4 v[8:9], v[10:13], off offset:8
.LBB11_169:
	s_or_b64 exec, exec, s[10:11]
	s_lshl_b64 s[6:7], s[8:9], 12
	v_mov_b32_e32 v3, s7
	v_add_co_u32_e32 v10, vcc, s6, v6
	v_addc_co_u32_e32 v11, vcc, v7, v3, vcc
	s_movk_i32 s6, 0xff1f
	v_and_or_b32 v0, v0, s6, 32
	s_mov_b32 s8, 0
	v_mov_b32_e32 v3, v2
	v_readfirstlane_b32 s6, v10
	v_readfirstlane_b32 s7, v11
	v_add_co_u32_e32 v6, vcc, v10, v31
	s_mov_b32 s9, s8
	s_mov_b32 s10, s8
	;; [unrolled: 1-line block ×3, first 2 shown]
	s_nop 0
	global_store_dwordx4 v31, v[0:3], s[6:7]
	v_addc_co_u32_e32 v7, vcc, 0, v11, vcc
	v_mov_b32_e32 v0, s8
	v_mov_b32_e32 v1, s9
	;; [unrolled: 1-line block ×4, first 2 shown]
	global_store_dwordx4 v31, v[0:3], s[6:7] offset:16
	global_store_dwordx4 v31, v[0:3], s[6:7] offset:32
	;; [unrolled: 1-line block ×3, first 2 shown]
	s_and_saveexec_b64 s[6:7], s[0:1]
	s_cbranch_execz .LBB11_177
; %bb.170:
	v_mov_b32_e32 v10, 0
	global_load_dwordx2 v[13:14], v10, s[2:3] offset:32 glc
	global_load_dwordx2 v[0:1], v10, s[2:3] offset:40
	v_mov_b32_e32 v11, s4
	v_mov_b32_e32 v12, s5
	s_waitcnt vmcnt(0)
	v_readfirstlane_b32 s8, v0
	v_readfirstlane_b32 s9, v1
	s_and_b64 s[8:9], s[8:9], s[4:5]
	s_mul_i32 s9, s9, 24
	s_mul_hi_u32 s10, s8, 24
	s_mul_i32 s8, s8, 24
	s_add_i32 s9, s10, s9
	v_mov_b32_e32 v0, s9
	v_add_co_u32_e32 v4, vcc, s8, v4
	v_addc_co_u32_e32 v5, vcc, v5, v0, vcc
	global_store_dwordx2 v[4:5], v[13:14], off
	s_waitcnt vmcnt(0)
	global_atomic_cmpswap_x2 v[2:3], v10, v[11:14], s[2:3] offset:32 glc
	s_waitcnt vmcnt(0)
	v_cmp_ne_u64_e32 vcc, v[2:3], v[13:14]
	s_and_saveexec_b64 s[8:9], vcc
	s_cbranch_execz .LBB11_173
; %bb.171:
	s_mov_b64 s[10:11], 0
.LBB11_172:                             ; =>This Inner Loop Header: Depth=1
	s_sleep 1
	global_store_dwordx2 v[4:5], v[2:3], off
	v_mov_b32_e32 v0, s4
	v_mov_b32_e32 v1, s5
	s_waitcnt vmcnt(0)
	global_atomic_cmpswap_x2 v[0:1], v10, v[0:3], s[2:3] offset:32 glc
	s_waitcnt vmcnt(0)
	v_cmp_eq_u64_e32 vcc, v[0:1], v[2:3]
	v_mov_b32_e32 v3, v1
	s_or_b64 s[10:11], vcc, s[10:11]
	v_mov_b32_e32 v2, v0
	s_andn2_b64 exec, exec, s[10:11]
	s_cbranch_execnz .LBB11_172
.LBB11_173:
	s_or_b64 exec, exec, s[8:9]
	v_mov_b32_e32 v3, 0
	global_load_dwordx2 v[0:1], v3, s[2:3] offset:16
	s_mov_b64 s[8:9], exec
	v_mbcnt_lo_u32_b32 v2, s8, 0
	v_mbcnt_hi_u32_b32 v2, s9, v2
	v_cmp_eq_u32_e32 vcc, 0, v2
	s_and_saveexec_b64 s[10:11], vcc
	s_cbranch_execz .LBB11_175
; %bb.174:
	s_bcnt1_i32_b64 s8, s[8:9]
	v_mov_b32_e32 v2, s8
	s_waitcnt vmcnt(0)
	global_atomic_add_x2 v[0:1], v[2:3], off offset:8
.LBB11_175:
	s_or_b64 exec, exec, s[10:11]
	s_waitcnt vmcnt(0)
	global_load_dwordx2 v[2:3], v[0:1], off offset:16
	s_waitcnt vmcnt(0)
	v_cmp_eq_u64_e32 vcc, 0, v[2:3]
	s_cbranch_vccnz .LBB11_177
; %bb.176:
	global_load_dword v0, v[0:1], off offset:24
	v_mov_b32_e32 v1, 0
	s_waitcnt vmcnt(0)
	v_readfirstlane_b32 s8, v0
	s_and_b32 m0, s8, 0xffffff
	global_store_dwordx2 v[2:3], v[0:1], off
	s_sendmsg sendmsg(MSG_INTERRUPT)
.LBB11_177:
	s_or_b64 exec, exec, s[6:7]
	s_branch .LBB11_181
.LBB11_178:                             ;   in Loop: Header=BB11_181 Depth=1
	s_or_b64 exec, exec, s[6:7]
	v_readfirstlane_b32 s6, v0
	s_cmp_eq_u32 s6, 0
	s_cbranch_scc1 .LBB11_180
; %bb.179:                              ;   in Loop: Header=BB11_181 Depth=1
	s_sleep 1
	s_cbranch_execnz .LBB11_181
	s_branch .LBB11_183
.LBB11_180:
	s_branch .LBB11_183
.LBB11_181:                             ; =>This Inner Loop Header: Depth=1
	v_mov_b32_e32 v0, 1
	s_and_saveexec_b64 s[6:7], s[0:1]
	s_cbranch_execz .LBB11_178
; %bb.182:                              ;   in Loop: Header=BB11_181 Depth=1
	global_load_dword v0, v[8:9], off offset:20 glc
	s_waitcnt vmcnt(0)
	buffer_wbinvl1_vol
	v_and_b32_e32 v0, 1, v0
	s_branch .LBB11_178
.LBB11_183:
	global_load_dwordx2 v[4:5], v[6:7], off
	s_and_saveexec_b64 s[6:7], s[0:1]
	s_cbranch_execz .LBB11_186
; %bb.184:
	v_mov_b32_e32 v8, 0
	global_load_dwordx2 v[0:1], v8, s[2:3] offset:40
	global_load_dwordx2 v[11:12], v8, s[2:3] offset:24 glc
	global_load_dwordx2 v[2:3], v8, s[2:3]
	s_waitcnt vmcnt(2)
	v_readfirstlane_b32 s8, v0
	v_readfirstlane_b32 s9, v1
	s_add_u32 s10, s8, 1
	s_addc_u32 s11, s9, 0
	s_add_u32 s0, s10, s4
	s_addc_u32 s1, s11, s5
	s_cmp_eq_u64 s[0:1], 0
	s_cselect_b32 s1, s11, s1
	s_cselect_b32 s0, s10, s0
	s_and_b64 s[4:5], s[0:1], s[8:9]
	s_mul_i32 s5, s5, 24
	s_mul_hi_u32 s8, s4, 24
	s_mul_i32 s4, s4, 24
	s_add_i32 s5, s8, s5
	v_mov_b32_e32 v0, s5
	s_waitcnt vmcnt(0)
	v_add_co_u32_e32 v6, vcc, s4, v2
	v_addc_co_u32_e32 v7, vcc, v3, v0, vcc
	v_mov_b32_e32 v9, s0
	global_store_dwordx2 v[6:7], v[11:12], off
	v_mov_b32_e32 v10, s1
	s_waitcnt vmcnt(0)
	global_atomic_cmpswap_x2 v[2:3], v8, v[9:12], s[2:3] offset:24 glc
	s_mov_b64 s[4:5], 0
	s_waitcnt vmcnt(0)
	v_cmp_ne_u64_e32 vcc, v[2:3], v[11:12]
	s_and_b64 exec, exec, vcc
	s_cbranch_execz .LBB11_186
.LBB11_185:                             ; =>This Inner Loop Header: Depth=1
	s_sleep 1
	global_store_dwordx2 v[6:7], v[2:3], off
	v_mov_b32_e32 v0, s0
	v_mov_b32_e32 v1, s1
	s_waitcnt vmcnt(0)
	global_atomic_cmpswap_x2 v[0:1], v8, v[0:3], s[2:3] offset:24 glc
	s_waitcnt vmcnt(0)
	v_cmp_eq_u64_e32 vcc, v[0:1], v[2:3]
	v_mov_b32_e32 v3, v1
	s_or_b64 s[4:5], vcc, s[4:5]
	v_mov_b32_e32 v2, v0
	s_andn2_b64 exec, exec, s[4:5]
	s_cbranch_execnz .LBB11_185
.LBB11_186:
	s_or_b64 exec, exec, s[6:7]
.LBB11_187:
	s_getpc_b64 s[4:5]
	s_add_u32 s4, s4, .str.1@rel32@lo+4
	s_addc_u32 s5, s5, .str.1@rel32@hi+12
	s_cmp_lg_u64 s[4:5], 0
	s_cbranch_scc0 .LBB11_272
; %bb.188:
	s_waitcnt vmcnt(0)
	v_and_b32_e32 v29, 2, v4
	v_mov_b32_e32 v26, 0
	v_and_b32_e32 v0, -3, v4
	v_mov_b32_e32 v1, v5
	s_mov_b64 s[6:7], 0x61
	v_mov_b32_e32 v8, 2
	v_mov_b32_e32 v9, 1
	s_branch .LBB11_190
.LBB11_189:                             ;   in Loop: Header=BB11_190 Depth=1
	s_or_b64 exec, exec, s[12:13]
	s_sub_u32 s6, s6, s8
	s_subb_u32 s7, s7, s9
	s_add_u32 s4, s4, s8
	s_addc_u32 s5, s5, s9
	s_cmp_lg_u64 s[6:7], 0
	s_cbranch_scc0 .LBB11_273
.LBB11_190:                             ; =>This Loop Header: Depth=1
                                        ;     Child Loop BB11_193 Depth 2
                                        ;     Child Loop BB11_201 Depth 2
	;; [unrolled: 1-line block ×11, first 2 shown]
	v_cmp_lt_u64_e64 s[0:1], s[6:7], 56
	v_cmp_gt_u64_e64 s[10:11], s[6:7], 7
	s_and_b64 s[0:1], s[0:1], exec
	s_cselect_b32 s9, s7, 0
	s_cselect_b32 s8, s6, 56
	s_add_u32 s0, s4, 8
	s_addc_u32 s1, s5, 0
	s_and_b64 vcc, exec, s[10:11]
	s_cbranch_vccnz .LBB11_194
; %bb.191:                              ;   in Loop: Header=BB11_190 Depth=1
	s_cmp_eq_u64 s[6:7], 0
	s_cbranch_scc1 .LBB11_195
; %bb.192:                              ;   in Loop: Header=BB11_190 Depth=1
	v_mov_b32_e32 v2, 0
	s_lshl_b64 s[0:1], s[8:9], 3
	s_mov_b64 s[10:11], 0
	v_mov_b32_e32 v3, 0
	s_mov_b64 s[12:13], s[4:5]
.LBB11_193:                             ;   Parent Loop BB11_190 Depth=1
                                        ; =>  This Inner Loop Header: Depth=2
	global_load_ubyte v6, v26, s[12:13]
	s_waitcnt vmcnt(0)
	v_and_b32_e32 v25, 0xffff, v6
	v_lshlrev_b64 v[6:7], s10, v[25:26]
	s_add_u32 s10, s10, 8
	s_addc_u32 s11, s11, 0
	s_add_u32 s12, s12, 1
	s_addc_u32 s13, s13, 0
	v_or_b32_e32 v2, v6, v2
	s_cmp_lg_u32 s0, s10
	v_or_b32_e32 v3, v7, v3
	s_cbranch_scc1 .LBB11_193
	s_branch .LBB11_196
.LBB11_194:                             ;   in Loop: Header=BB11_190 Depth=1
	s_mov_b32 s14, 0
	s_branch .LBB11_197
.LBB11_195:                             ;   in Loop: Header=BB11_190 Depth=1
	v_mov_b32_e32 v2, 0
	v_mov_b32_e32 v3, 0
.LBB11_196:                             ;   in Loop: Header=BB11_190 Depth=1
	s_mov_b64 s[0:1], s[4:5]
	s_mov_b32 s14, 0
	s_cbranch_execnz .LBB11_198
.LBB11_197:                             ;   in Loop: Header=BB11_190 Depth=1
	global_load_dwordx2 v[2:3], v26, s[4:5]
	s_add_i32 s14, s8, -8
.LBB11_198:                             ;   in Loop: Header=BB11_190 Depth=1
	s_add_u32 s10, s0, 8
	s_addc_u32 s11, s1, 0
	s_cmp_gt_u32 s14, 7
	s_cbranch_scc1 .LBB11_202
; %bb.199:                              ;   in Loop: Header=BB11_190 Depth=1
	s_cmp_eq_u32 s14, 0
	s_cbranch_scc1 .LBB11_203
; %bb.200:                              ;   in Loop: Header=BB11_190 Depth=1
	v_mov_b32_e32 v10, 0
	s_mov_b64 s[10:11], 0
	v_mov_b32_e32 v11, 0
	s_mov_b64 s[12:13], 0
.LBB11_201:                             ;   Parent Loop BB11_190 Depth=1
                                        ; =>  This Inner Loop Header: Depth=2
	s_add_u32 s16, s0, s12
	s_addc_u32 s17, s1, s13
	global_load_ubyte v6, v26, s[16:17]
	s_add_u32 s12, s12, 1
	s_addc_u32 s13, s13, 0
	s_waitcnt vmcnt(0)
	v_and_b32_e32 v25, 0xffff, v6
	v_lshlrev_b64 v[6:7], s10, v[25:26]
	s_add_u32 s10, s10, 8
	s_addc_u32 s11, s11, 0
	v_or_b32_e32 v10, v6, v10
	s_cmp_lg_u32 s14, s12
	v_or_b32_e32 v11, v7, v11
	s_cbranch_scc1 .LBB11_201
	s_branch .LBB11_204
.LBB11_202:                             ;   in Loop: Header=BB11_190 Depth=1
                                        ; implicit-def: $vgpr10_vgpr11
	s_mov_b32 s15, 0
	s_branch .LBB11_205
.LBB11_203:                             ;   in Loop: Header=BB11_190 Depth=1
	v_mov_b32_e32 v10, 0
	v_mov_b32_e32 v11, 0
.LBB11_204:                             ;   in Loop: Header=BB11_190 Depth=1
	s_mov_b64 s[10:11], s[0:1]
	s_mov_b32 s15, 0
	s_cbranch_execnz .LBB11_206
.LBB11_205:                             ;   in Loop: Header=BB11_190 Depth=1
	global_load_dwordx2 v[10:11], v26, s[0:1]
	s_add_i32 s15, s14, -8
.LBB11_206:                             ;   in Loop: Header=BB11_190 Depth=1
	s_add_u32 s0, s10, 8
	s_addc_u32 s1, s11, 0
	s_cmp_gt_u32 s15, 7
	s_cbranch_scc1 .LBB11_210
; %bb.207:                              ;   in Loop: Header=BB11_190 Depth=1
	s_cmp_eq_u32 s15, 0
	s_cbranch_scc1 .LBB11_211
; %bb.208:                              ;   in Loop: Header=BB11_190 Depth=1
	v_mov_b32_e32 v12, 0
	s_mov_b64 s[0:1], 0
	v_mov_b32_e32 v13, 0
	s_mov_b64 s[12:13], 0
.LBB11_209:                             ;   Parent Loop BB11_190 Depth=1
                                        ; =>  This Inner Loop Header: Depth=2
	s_add_u32 s16, s10, s12
	s_addc_u32 s17, s11, s13
	global_load_ubyte v6, v26, s[16:17]
	s_add_u32 s12, s12, 1
	s_addc_u32 s13, s13, 0
	s_waitcnt vmcnt(0)
	v_and_b32_e32 v25, 0xffff, v6
	v_lshlrev_b64 v[6:7], s0, v[25:26]
	s_add_u32 s0, s0, 8
	s_addc_u32 s1, s1, 0
	v_or_b32_e32 v12, v6, v12
	s_cmp_lg_u32 s15, s12
	v_or_b32_e32 v13, v7, v13
	s_cbranch_scc1 .LBB11_209
	s_branch .LBB11_212
.LBB11_210:                             ;   in Loop: Header=BB11_190 Depth=1
	s_mov_b32 s14, 0
	s_branch .LBB11_213
.LBB11_211:                             ;   in Loop: Header=BB11_190 Depth=1
	v_mov_b32_e32 v12, 0
	v_mov_b32_e32 v13, 0
.LBB11_212:                             ;   in Loop: Header=BB11_190 Depth=1
	s_mov_b64 s[0:1], s[10:11]
	s_mov_b32 s14, 0
	s_cbranch_execnz .LBB11_214
.LBB11_213:                             ;   in Loop: Header=BB11_190 Depth=1
	global_load_dwordx2 v[12:13], v26, s[10:11]
	s_add_i32 s14, s15, -8
.LBB11_214:                             ;   in Loop: Header=BB11_190 Depth=1
	s_add_u32 s10, s0, 8
	s_addc_u32 s11, s1, 0
	s_cmp_gt_u32 s14, 7
	s_cbranch_scc1 .LBB11_218
; %bb.215:                              ;   in Loop: Header=BB11_190 Depth=1
	s_cmp_eq_u32 s14, 0
	s_cbranch_scc1 .LBB11_219
; %bb.216:                              ;   in Loop: Header=BB11_190 Depth=1
	v_mov_b32_e32 v14, 0
	s_mov_b64 s[10:11], 0
	v_mov_b32_e32 v15, 0
	s_mov_b64 s[12:13], 0
.LBB11_217:                             ;   Parent Loop BB11_190 Depth=1
                                        ; =>  This Inner Loop Header: Depth=2
	s_add_u32 s16, s0, s12
	s_addc_u32 s17, s1, s13
	global_load_ubyte v6, v26, s[16:17]
	s_add_u32 s12, s12, 1
	s_addc_u32 s13, s13, 0
	s_waitcnt vmcnt(0)
	v_and_b32_e32 v25, 0xffff, v6
	v_lshlrev_b64 v[6:7], s10, v[25:26]
	s_add_u32 s10, s10, 8
	s_addc_u32 s11, s11, 0
	v_or_b32_e32 v14, v6, v14
	s_cmp_lg_u32 s14, s12
	v_or_b32_e32 v15, v7, v15
	s_cbranch_scc1 .LBB11_217
	s_branch .LBB11_220
.LBB11_218:                             ;   in Loop: Header=BB11_190 Depth=1
                                        ; implicit-def: $vgpr14_vgpr15
	s_mov_b32 s15, 0
	s_branch .LBB11_221
.LBB11_219:                             ;   in Loop: Header=BB11_190 Depth=1
	v_mov_b32_e32 v14, 0
	v_mov_b32_e32 v15, 0
.LBB11_220:                             ;   in Loop: Header=BB11_190 Depth=1
	s_mov_b64 s[10:11], s[0:1]
	s_mov_b32 s15, 0
	s_cbranch_execnz .LBB11_222
.LBB11_221:                             ;   in Loop: Header=BB11_190 Depth=1
	global_load_dwordx2 v[14:15], v26, s[0:1]
	s_add_i32 s15, s14, -8
.LBB11_222:                             ;   in Loop: Header=BB11_190 Depth=1
	s_add_u32 s0, s10, 8
	s_addc_u32 s1, s11, 0
	s_cmp_gt_u32 s15, 7
	s_cbranch_scc1 .LBB11_226
; %bb.223:                              ;   in Loop: Header=BB11_190 Depth=1
	s_cmp_eq_u32 s15, 0
	s_cbranch_scc1 .LBB11_227
; %bb.224:                              ;   in Loop: Header=BB11_190 Depth=1
	v_mov_b32_e32 v16, 0
	s_mov_b64 s[0:1], 0
	v_mov_b32_e32 v17, 0
	s_mov_b64 s[12:13], 0
.LBB11_225:                             ;   Parent Loop BB11_190 Depth=1
                                        ; =>  This Inner Loop Header: Depth=2
	s_add_u32 s16, s10, s12
	s_addc_u32 s17, s11, s13
	global_load_ubyte v6, v26, s[16:17]
	s_add_u32 s12, s12, 1
	s_addc_u32 s13, s13, 0
	s_waitcnt vmcnt(0)
	v_and_b32_e32 v25, 0xffff, v6
	v_lshlrev_b64 v[6:7], s0, v[25:26]
	s_add_u32 s0, s0, 8
	s_addc_u32 s1, s1, 0
	v_or_b32_e32 v16, v6, v16
	s_cmp_lg_u32 s15, s12
	v_or_b32_e32 v17, v7, v17
	s_cbranch_scc1 .LBB11_225
	s_branch .LBB11_228
.LBB11_226:                             ;   in Loop: Header=BB11_190 Depth=1
	s_mov_b32 s14, 0
	s_branch .LBB11_229
.LBB11_227:                             ;   in Loop: Header=BB11_190 Depth=1
	v_mov_b32_e32 v16, 0
	v_mov_b32_e32 v17, 0
.LBB11_228:                             ;   in Loop: Header=BB11_190 Depth=1
	s_mov_b64 s[0:1], s[10:11]
	s_mov_b32 s14, 0
	s_cbranch_execnz .LBB11_230
.LBB11_229:                             ;   in Loop: Header=BB11_190 Depth=1
	global_load_dwordx2 v[16:17], v26, s[10:11]
	s_add_i32 s14, s15, -8
.LBB11_230:                             ;   in Loop: Header=BB11_190 Depth=1
	s_add_u32 s10, s0, 8
	s_addc_u32 s11, s1, 0
	s_cmp_gt_u32 s14, 7
	s_cbranch_scc1 .LBB11_234
; %bb.231:                              ;   in Loop: Header=BB11_190 Depth=1
	s_cmp_eq_u32 s14, 0
	s_cbranch_scc1 .LBB11_235
; %bb.232:                              ;   in Loop: Header=BB11_190 Depth=1
	v_mov_b32_e32 v18, 0
	s_mov_b64 s[10:11], 0
	v_mov_b32_e32 v19, 0
	s_mov_b64 s[12:13], 0
.LBB11_233:                             ;   Parent Loop BB11_190 Depth=1
                                        ; =>  This Inner Loop Header: Depth=2
	s_add_u32 s16, s0, s12
	s_addc_u32 s17, s1, s13
	global_load_ubyte v6, v26, s[16:17]
	s_add_u32 s12, s12, 1
	s_addc_u32 s13, s13, 0
	s_waitcnt vmcnt(0)
	v_and_b32_e32 v25, 0xffff, v6
	v_lshlrev_b64 v[6:7], s10, v[25:26]
	s_add_u32 s10, s10, 8
	s_addc_u32 s11, s11, 0
	v_or_b32_e32 v18, v6, v18
	s_cmp_lg_u32 s14, s12
	v_or_b32_e32 v19, v7, v19
	s_cbranch_scc1 .LBB11_233
	s_branch .LBB11_236
.LBB11_234:                             ;   in Loop: Header=BB11_190 Depth=1
                                        ; implicit-def: $vgpr18_vgpr19
	s_mov_b32 s15, 0
	s_branch .LBB11_237
.LBB11_235:                             ;   in Loop: Header=BB11_190 Depth=1
	v_mov_b32_e32 v18, 0
	v_mov_b32_e32 v19, 0
.LBB11_236:                             ;   in Loop: Header=BB11_190 Depth=1
	s_mov_b64 s[10:11], s[0:1]
	s_mov_b32 s15, 0
	s_cbranch_execnz .LBB11_238
.LBB11_237:                             ;   in Loop: Header=BB11_190 Depth=1
	global_load_dwordx2 v[18:19], v26, s[0:1]
	s_add_i32 s15, s14, -8
.LBB11_238:                             ;   in Loop: Header=BB11_190 Depth=1
	s_cmp_gt_u32 s15, 7
	s_cbranch_scc1 .LBB11_242
; %bb.239:                              ;   in Loop: Header=BB11_190 Depth=1
	s_cmp_eq_u32 s15, 0
	s_cbranch_scc1 .LBB11_243
; %bb.240:                              ;   in Loop: Header=BB11_190 Depth=1
	v_mov_b32_e32 v20, 0
	s_mov_b64 s[0:1], 0
	v_mov_b32_e32 v21, 0
	s_mov_b64 s[12:13], s[10:11]
.LBB11_241:                             ;   Parent Loop BB11_190 Depth=1
                                        ; =>  This Inner Loop Header: Depth=2
	global_load_ubyte v6, v26, s[12:13]
	s_add_i32 s15, s15, -1
	s_waitcnt vmcnt(0)
	v_and_b32_e32 v25, 0xffff, v6
	v_lshlrev_b64 v[6:7], s0, v[25:26]
	s_add_u32 s0, s0, 8
	s_addc_u32 s1, s1, 0
	s_add_u32 s12, s12, 1
	s_addc_u32 s13, s13, 0
	v_or_b32_e32 v20, v6, v20
	s_cmp_lg_u32 s15, 0
	v_or_b32_e32 v21, v7, v21
	s_cbranch_scc1 .LBB11_241
	s_branch .LBB11_244
.LBB11_242:                             ;   in Loop: Header=BB11_190 Depth=1
	s_branch .LBB11_245
.LBB11_243:                             ;   in Loop: Header=BB11_190 Depth=1
	v_mov_b32_e32 v20, 0
	v_mov_b32_e32 v21, 0
.LBB11_244:                             ;   in Loop: Header=BB11_190 Depth=1
	s_cbranch_execnz .LBB11_246
.LBB11_245:                             ;   in Loop: Header=BB11_190 Depth=1
	global_load_dwordx2 v[20:21], v26, s[10:11]
.LBB11_246:                             ;   in Loop: Header=BB11_190 Depth=1
	v_readfirstlane_b32 s0, v32
	v_mov_b32_e32 v6, 0
	v_mov_b32_e32 v7, 0
	v_cmp_eq_u32_e64 s[0:1], s0, v32
	s_and_saveexec_b64 s[10:11], s[0:1]
	s_cbranch_execz .LBB11_252
; %bb.247:                              ;   in Loop: Header=BB11_190 Depth=1
	global_load_dwordx2 v[24:25], v26, s[2:3] offset:24 glc
	s_waitcnt vmcnt(0)
	buffer_wbinvl1_vol
	global_load_dwordx2 v[6:7], v26, s[2:3] offset:40
	global_load_dwordx2 v[22:23], v26, s[2:3]
	s_waitcnt vmcnt(1)
	v_and_b32_e32 v6, v6, v24
	v_and_b32_e32 v7, v7, v25
	v_mul_lo_u32 v7, v7, 24
	v_mul_hi_u32 v27, v6, 24
	v_mul_lo_u32 v6, v6, 24
	v_add_u32_e32 v7, v27, v7
	s_waitcnt vmcnt(0)
	v_add_co_u32_e32 v6, vcc, v22, v6
	v_addc_co_u32_e32 v7, vcc, v23, v7, vcc
	global_load_dwordx2 v[22:23], v[6:7], off glc
	s_waitcnt vmcnt(0)
	global_atomic_cmpswap_x2 v[6:7], v26, v[22:25], s[2:3] offset:24 glc
	s_waitcnt vmcnt(0)
	buffer_wbinvl1_vol
	v_cmp_ne_u64_e32 vcc, v[6:7], v[24:25]
	s_and_saveexec_b64 s[12:13], vcc
	s_cbranch_execz .LBB11_251
; %bb.248:                              ;   in Loop: Header=BB11_190 Depth=1
	s_mov_b64 s[14:15], 0
.LBB11_249:                             ;   Parent Loop BB11_190 Depth=1
                                        ; =>  This Inner Loop Header: Depth=2
	s_sleep 1
	global_load_dwordx2 v[22:23], v26, s[2:3] offset:40
	global_load_dwordx2 v[27:28], v26, s[2:3]
	v_mov_b32_e32 v25, v7
	v_mov_b32_e32 v24, v6
	s_waitcnt vmcnt(1)
	v_and_b32_e32 v6, v22, v24
	s_waitcnt vmcnt(0)
	v_mad_u64_u32 v[6:7], s[16:17], v6, 24, v[27:28]
	v_and_b32_e32 v22, v23, v25
	v_mad_u64_u32 v[22:23], s[16:17], v22, 24, v[7:8]
	v_mov_b32_e32 v7, v22
	global_load_dwordx2 v[22:23], v[6:7], off glc
	s_waitcnt vmcnt(0)
	global_atomic_cmpswap_x2 v[6:7], v26, v[22:25], s[2:3] offset:24 glc
	s_waitcnt vmcnt(0)
	buffer_wbinvl1_vol
	v_cmp_eq_u64_e32 vcc, v[6:7], v[24:25]
	s_or_b64 s[14:15], vcc, s[14:15]
	s_andn2_b64 exec, exec, s[14:15]
	s_cbranch_execnz .LBB11_249
; %bb.250:                              ;   in Loop: Header=BB11_190 Depth=1
	s_or_b64 exec, exec, s[14:15]
.LBB11_251:                             ;   in Loop: Header=BB11_190 Depth=1
	s_or_b64 exec, exec, s[12:13]
.LBB11_252:                             ;   in Loop: Header=BB11_190 Depth=1
	s_or_b64 exec, exec, s[10:11]
	global_load_dwordx2 v[27:28], v26, s[2:3] offset:40
	global_load_dwordx4 v[22:25], v26, s[2:3]
	v_readfirstlane_b32 s11, v7
	v_readfirstlane_b32 s10, v6
	s_mov_b64 s[12:13], exec
	s_waitcnt vmcnt(1)
	v_readfirstlane_b32 s14, v27
	v_readfirstlane_b32 s15, v28
	s_and_b64 s[14:15], s[14:15], s[10:11]
	s_mul_i32 s16, s15, 24
	s_mul_hi_u32 s17, s14, 24
	s_mul_i32 s18, s14, 24
	s_add_i32 s16, s17, s16
	v_mov_b32_e32 v6, s16
	s_waitcnt vmcnt(0)
	v_add_co_u32_e32 v27, vcc, s18, v22
	v_addc_co_u32_e32 v28, vcc, v23, v6, vcc
	s_and_saveexec_b64 s[16:17], s[0:1]
	s_cbranch_execz .LBB11_254
; %bb.253:                              ;   in Loop: Header=BB11_190 Depth=1
	v_mov_b32_e32 v6, s12
	v_mov_b32_e32 v7, s13
	global_store_dwordx4 v[27:28], v[6:9], off offset:8
.LBB11_254:                             ;   in Loop: Header=BB11_190 Depth=1
	s_or_b64 exec, exec, s[16:17]
	s_lshl_b64 s[12:13], s[14:15], 12
	v_mov_b32_e32 v6, s13
	v_add_co_u32_e32 v24, vcc, s12, v24
	v_addc_co_u32_e32 v30, vcc, v25, v6, vcc
	v_cmp_lt_u64_e64 vcc, s[6:7], 57
	s_lshl_b32 s12, s8, 2
	v_cndmask_b32_e32 v6, 0, v29, vcc
	s_add_i32 s12, s12, 28
	v_and_b32_e32 v0, 0xffffff1f, v0
	s_and_b32 s12, s12, 0x1e0
	v_or_b32_e32 v0, v0, v6
	v_or_b32_e32 v0, s12, v0
	v_readfirstlane_b32 s12, v24
	v_readfirstlane_b32 s13, v30
	s_nop 4
	global_store_dwordx4 v31, v[0:3], s[12:13]
	global_store_dwordx4 v31, v[10:13], s[12:13] offset:16
	global_store_dwordx4 v31, v[14:17], s[12:13] offset:32
	;; [unrolled: 1-line block ×3, first 2 shown]
	s_and_saveexec_b64 s[12:13], s[0:1]
	s_cbranch_execz .LBB11_262
; %bb.255:                              ;   in Loop: Header=BB11_190 Depth=1
	global_load_dwordx2 v[12:13], v26, s[2:3] offset:32 glc
	global_load_dwordx2 v[0:1], v26, s[2:3] offset:40
	v_mov_b32_e32 v10, s10
	v_mov_b32_e32 v11, s11
	s_waitcnt vmcnt(0)
	v_readfirstlane_b32 s14, v0
	v_readfirstlane_b32 s15, v1
	s_and_b64 s[14:15], s[14:15], s[10:11]
	s_mul_i32 s15, s15, 24
	s_mul_hi_u32 s16, s14, 24
	s_mul_i32 s14, s14, 24
	s_add_i32 s15, s16, s15
	v_mov_b32_e32 v0, s15
	v_add_co_u32_e32 v6, vcc, s14, v22
	v_addc_co_u32_e32 v7, vcc, v23, v0, vcc
	global_store_dwordx2 v[6:7], v[12:13], off
	s_waitcnt vmcnt(0)
	global_atomic_cmpswap_x2 v[2:3], v26, v[10:13], s[2:3] offset:32 glc
	s_waitcnt vmcnt(0)
	v_cmp_ne_u64_e32 vcc, v[2:3], v[12:13]
	s_and_saveexec_b64 s[14:15], vcc
	s_cbranch_execz .LBB11_258
; %bb.256:                              ;   in Loop: Header=BB11_190 Depth=1
	s_mov_b64 s[16:17], 0
.LBB11_257:                             ;   Parent Loop BB11_190 Depth=1
                                        ; =>  This Inner Loop Header: Depth=2
	s_sleep 1
	global_store_dwordx2 v[6:7], v[2:3], off
	v_mov_b32_e32 v0, s10
	v_mov_b32_e32 v1, s11
	s_waitcnt vmcnt(0)
	global_atomic_cmpswap_x2 v[0:1], v26, v[0:3], s[2:3] offset:32 glc
	s_waitcnt vmcnt(0)
	v_cmp_eq_u64_e32 vcc, v[0:1], v[2:3]
	v_mov_b32_e32 v3, v1
	s_or_b64 s[16:17], vcc, s[16:17]
	v_mov_b32_e32 v2, v0
	s_andn2_b64 exec, exec, s[16:17]
	s_cbranch_execnz .LBB11_257
.LBB11_258:                             ;   in Loop: Header=BB11_190 Depth=1
	s_or_b64 exec, exec, s[14:15]
	global_load_dwordx2 v[0:1], v26, s[2:3] offset:16
	s_mov_b64 s[16:17], exec
	v_mbcnt_lo_u32_b32 v2, s16, 0
	v_mbcnt_hi_u32_b32 v2, s17, v2
	v_cmp_eq_u32_e32 vcc, 0, v2
	s_and_saveexec_b64 s[14:15], vcc
	s_cbranch_execz .LBB11_260
; %bb.259:                              ;   in Loop: Header=BB11_190 Depth=1
	s_bcnt1_i32_b64 s16, s[16:17]
	v_mov_b32_e32 v25, s16
	s_waitcnt vmcnt(0)
	global_atomic_add_x2 v[0:1], v[25:26], off offset:8
.LBB11_260:                             ;   in Loop: Header=BB11_190 Depth=1
	s_or_b64 exec, exec, s[14:15]
	s_waitcnt vmcnt(0)
	global_load_dwordx2 v[2:3], v[0:1], off offset:16
	s_waitcnt vmcnt(0)
	v_cmp_eq_u64_e32 vcc, 0, v[2:3]
	s_cbranch_vccnz .LBB11_262
; %bb.261:                              ;   in Loop: Header=BB11_190 Depth=1
	global_load_dword v25, v[0:1], off offset:24
	s_waitcnt vmcnt(0)
	v_readfirstlane_b32 s14, v25
	s_and_b32 m0, s14, 0xffffff
	global_store_dwordx2 v[2:3], v[25:26], off
	s_sendmsg sendmsg(MSG_INTERRUPT)
.LBB11_262:                             ;   in Loop: Header=BB11_190 Depth=1
	s_or_b64 exec, exec, s[12:13]
	v_add_co_u32_e32 v0, vcc, v24, v31
	v_addc_co_u32_e32 v1, vcc, 0, v30, vcc
	s_branch .LBB11_266
.LBB11_263:                             ;   in Loop: Header=BB11_266 Depth=2
	s_or_b64 exec, exec, s[12:13]
	v_readfirstlane_b32 s12, v2
	s_cmp_eq_u32 s12, 0
	s_cbranch_scc1 .LBB11_265
; %bb.264:                              ;   in Loop: Header=BB11_266 Depth=2
	s_sleep 1
	s_cbranch_execnz .LBB11_266
	s_branch .LBB11_268
.LBB11_265:                             ;   in Loop: Header=BB11_190 Depth=1
	s_branch .LBB11_268
.LBB11_266:                             ;   Parent Loop BB11_190 Depth=1
                                        ; =>  This Inner Loop Header: Depth=2
	v_mov_b32_e32 v2, 1
	s_and_saveexec_b64 s[12:13], s[0:1]
	s_cbranch_execz .LBB11_263
; %bb.267:                              ;   in Loop: Header=BB11_266 Depth=2
	global_load_dword v2, v[27:28], off offset:20 glc
	s_waitcnt vmcnt(0)
	buffer_wbinvl1_vol
	v_and_b32_e32 v2, 1, v2
	s_branch .LBB11_263
.LBB11_268:                             ;   in Loop: Header=BB11_190 Depth=1
	global_load_dwordx2 v[0:1], v[0:1], off
	s_and_saveexec_b64 s[12:13], s[0:1]
	s_cbranch_execz .LBB11_189
; %bb.269:                              ;   in Loop: Header=BB11_190 Depth=1
	global_load_dwordx2 v[2:3], v26, s[2:3] offset:40
	global_load_dwordx2 v[14:15], v26, s[2:3] offset:24 glc
	global_load_dwordx2 v[6:7], v26, s[2:3]
	s_waitcnt vmcnt(2)
	v_readfirstlane_b32 s14, v2
	v_readfirstlane_b32 s15, v3
	s_add_u32 s16, s14, 1
	s_addc_u32 s17, s15, 0
	s_add_u32 s0, s16, s10
	s_addc_u32 s1, s17, s11
	s_cmp_eq_u64 s[0:1], 0
	s_cselect_b32 s1, s17, s1
	s_cselect_b32 s0, s16, s0
	s_and_b64 s[10:11], s[0:1], s[14:15]
	s_mul_i32 s11, s11, 24
	s_mul_hi_u32 s14, s10, 24
	s_mul_i32 s10, s10, 24
	s_add_i32 s11, s14, s11
	v_mov_b32_e32 v3, s11
	s_waitcnt vmcnt(0)
	v_add_co_u32_e32 v2, vcc, s10, v6
	v_addc_co_u32_e32 v3, vcc, v7, v3, vcc
	v_mov_b32_e32 v12, s0
	global_store_dwordx2 v[2:3], v[14:15], off
	v_mov_b32_e32 v13, s1
	s_waitcnt vmcnt(0)
	global_atomic_cmpswap_x2 v[12:13], v26, v[12:15], s[2:3] offset:24 glc
	s_waitcnt vmcnt(0)
	v_cmp_ne_u64_e32 vcc, v[12:13], v[14:15]
	s_and_b64 exec, exec, vcc
	s_cbranch_execz .LBB11_189
; %bb.270:                              ;   in Loop: Header=BB11_190 Depth=1
	s_mov_b64 s[10:11], 0
.LBB11_271:                             ;   Parent Loop BB11_190 Depth=1
                                        ; =>  This Inner Loop Header: Depth=2
	s_sleep 1
	global_store_dwordx2 v[2:3], v[12:13], off
	v_mov_b32_e32 v10, s0
	v_mov_b32_e32 v11, s1
	s_waitcnt vmcnt(0)
	global_atomic_cmpswap_x2 v[6:7], v26, v[10:13], s[2:3] offset:24 glc
	s_waitcnt vmcnt(0)
	v_cmp_eq_u64_e32 vcc, v[6:7], v[12:13]
	v_mov_b32_e32 v13, v7
	s_or_b64 s[10:11], vcc, s[10:11]
	v_mov_b32_e32 v12, v6
	s_andn2_b64 exec, exec, s[10:11]
	s_cbranch_execnz .LBB11_271
	s_branch .LBB11_189
.LBB11_272:
	s_mov_b64 s[0:1], -1
                                        ; implicit-def: $vgpr0_vgpr1
	s_branch .LBB11_274
.LBB11_273:
	s_mov_b64 s[0:1], 0
.LBB11_274:
	s_and_b64 vcc, exec, s[0:1]
	s_cbranch_vccz .LBB11_301
; %bb.275:
	v_readfirstlane_b32 s0, v32
	v_mov_b32_e32 v7, 0
	v_mov_b32_e32 v8, 0
	v_cmp_eq_u32_e64 s[0:1], s0, v32
	s_and_saveexec_b64 s[4:5], s[0:1]
	s_cbranch_execz .LBB11_281
; %bb.276:
	s_waitcnt vmcnt(0)
	v_mov_b32_e32 v0, 0
	global_load_dwordx2 v[9:10], v0, s[2:3] offset:24 glc
	s_waitcnt vmcnt(0)
	buffer_wbinvl1_vol
	global_load_dwordx2 v[1:2], v0, s[2:3] offset:40
	global_load_dwordx2 v[6:7], v0, s[2:3]
	s_waitcnt vmcnt(1)
	v_and_b32_e32 v1, v1, v9
	v_and_b32_e32 v2, v2, v10
	v_mul_lo_u32 v2, v2, 24
	v_mul_hi_u32 v3, v1, 24
	v_mul_lo_u32 v1, v1, 24
	v_add_u32_e32 v2, v3, v2
	s_waitcnt vmcnt(0)
	v_add_co_u32_e32 v1, vcc, v6, v1
	v_addc_co_u32_e32 v2, vcc, v7, v2, vcc
	global_load_dwordx2 v[7:8], v[1:2], off glc
	s_waitcnt vmcnt(0)
	global_atomic_cmpswap_x2 v[7:8], v0, v[7:10], s[2:3] offset:24 glc
	s_waitcnt vmcnt(0)
	buffer_wbinvl1_vol
	v_cmp_ne_u64_e32 vcc, v[7:8], v[9:10]
	s_and_saveexec_b64 s[6:7], vcc
	s_cbranch_execz .LBB11_280
; %bb.277:
	s_mov_b64 s[8:9], 0
.LBB11_278:                             ; =>This Inner Loop Header: Depth=1
	s_sleep 1
	global_load_dwordx2 v[1:2], v0, s[2:3] offset:40
	global_load_dwordx2 v[11:12], v0, s[2:3]
	v_mov_b32_e32 v10, v8
	v_mov_b32_e32 v9, v7
	s_waitcnt vmcnt(1)
	v_and_b32_e32 v1, v1, v9
	s_waitcnt vmcnt(0)
	v_mad_u64_u32 v[6:7], s[10:11], v1, 24, v[11:12]
	v_and_b32_e32 v2, v2, v10
	v_mov_b32_e32 v1, v7
	v_mad_u64_u32 v[1:2], s[10:11], v2, 24, v[1:2]
	v_mov_b32_e32 v7, v1
	global_load_dwordx2 v[7:8], v[6:7], off glc
	s_waitcnt vmcnt(0)
	global_atomic_cmpswap_x2 v[7:8], v0, v[7:10], s[2:3] offset:24 glc
	s_waitcnt vmcnt(0)
	buffer_wbinvl1_vol
	v_cmp_eq_u64_e32 vcc, v[7:8], v[9:10]
	s_or_b64 s[8:9], vcc, s[8:9]
	s_andn2_b64 exec, exec, s[8:9]
	s_cbranch_execnz .LBB11_278
; %bb.279:
	s_or_b64 exec, exec, s[8:9]
.LBB11_280:
	s_or_b64 exec, exec, s[6:7]
.LBB11_281:
	s_or_b64 exec, exec, s[4:5]
	v_mov_b32_e32 v6, 0
	global_load_dwordx2 v[9:10], v6, s[2:3] offset:40
	global_load_dwordx4 v[0:3], v6, s[2:3]
	v_readfirstlane_b32 s5, v8
	v_readfirstlane_b32 s4, v7
	s_mov_b64 s[6:7], exec
	s_waitcnt vmcnt(1)
	v_readfirstlane_b32 s8, v9
	v_readfirstlane_b32 s9, v10
	s_and_b64 s[8:9], s[8:9], s[4:5]
	s_mul_i32 s10, s9, 24
	s_mul_hi_u32 s11, s8, 24
	s_mul_i32 s12, s8, 24
	s_add_i32 s10, s11, s10
	v_mov_b32_e32 v7, s10
	s_waitcnt vmcnt(0)
	v_add_co_u32_e32 v8, vcc, s12, v0
	v_addc_co_u32_e32 v9, vcc, v1, v7, vcc
	s_and_saveexec_b64 s[10:11], s[0:1]
	s_cbranch_execz .LBB11_283
; %bb.282:
	v_mov_b32_e32 v11, s7
	v_mov_b32_e32 v10, s6
	;; [unrolled: 1-line block ×4, first 2 shown]
	global_store_dwordx4 v[8:9], v[10:13], off offset:8
.LBB11_283:
	s_or_b64 exec, exec, s[10:11]
	s_lshl_b64 s[6:7], s[8:9], 12
	v_mov_b32_e32 v7, s7
	v_add_co_u32_e32 v2, vcc, s6, v2
	v_addc_co_u32_e32 v3, vcc, v3, v7, vcc
	s_movk_i32 s6, 0xff1f
	v_and_or_b32 v4, v4, s6, 32
	v_add_co_u32_e32 v10, vcc, v2, v31
	s_mov_b32 s8, 0
	v_mov_b32_e32 v7, v6
	v_readfirstlane_b32 s6, v2
	v_readfirstlane_b32 s7, v3
	v_addc_co_u32_e32 v11, vcc, 0, v3, vcc
	s_mov_b32 s9, s8
	s_mov_b32 s10, s8
	;; [unrolled: 1-line block ×3, first 2 shown]
	s_nop 0
	global_store_dwordx4 v31, v[4:7], s[6:7]
	v_mov_b32_e32 v2, s8
	v_mov_b32_e32 v3, s9
	;; [unrolled: 1-line block ×4, first 2 shown]
	global_store_dwordx4 v31, v[2:5], s[6:7] offset:16
	global_store_dwordx4 v31, v[2:5], s[6:7] offset:32
	;; [unrolled: 1-line block ×3, first 2 shown]
	s_and_saveexec_b64 s[6:7], s[0:1]
	s_cbranch_execz .LBB11_291
; %bb.284:
	v_mov_b32_e32 v6, 0
	global_load_dwordx2 v[14:15], v6, s[2:3] offset:32 glc
	global_load_dwordx2 v[2:3], v6, s[2:3] offset:40
	v_mov_b32_e32 v12, s4
	v_mov_b32_e32 v13, s5
	s_waitcnt vmcnt(0)
	v_readfirstlane_b32 s8, v2
	v_readfirstlane_b32 s9, v3
	s_and_b64 s[8:9], s[8:9], s[4:5]
	s_mul_i32 s9, s9, 24
	s_mul_hi_u32 s10, s8, 24
	s_mul_i32 s8, s8, 24
	s_add_i32 s9, s10, s9
	v_mov_b32_e32 v2, s9
	v_add_co_u32_e32 v4, vcc, s8, v0
	v_addc_co_u32_e32 v5, vcc, v1, v2, vcc
	global_store_dwordx2 v[4:5], v[14:15], off
	s_waitcnt vmcnt(0)
	global_atomic_cmpswap_x2 v[2:3], v6, v[12:15], s[2:3] offset:32 glc
	s_waitcnt vmcnt(0)
	v_cmp_ne_u64_e32 vcc, v[2:3], v[14:15]
	s_and_saveexec_b64 s[8:9], vcc
	s_cbranch_execz .LBB11_287
; %bb.285:
	s_mov_b64 s[10:11], 0
.LBB11_286:                             ; =>This Inner Loop Header: Depth=1
	s_sleep 1
	global_store_dwordx2 v[4:5], v[2:3], off
	v_mov_b32_e32 v0, s4
	v_mov_b32_e32 v1, s5
	s_waitcnt vmcnt(0)
	global_atomic_cmpswap_x2 v[0:1], v6, v[0:3], s[2:3] offset:32 glc
	s_waitcnt vmcnt(0)
	v_cmp_eq_u64_e32 vcc, v[0:1], v[2:3]
	v_mov_b32_e32 v3, v1
	s_or_b64 s[10:11], vcc, s[10:11]
	v_mov_b32_e32 v2, v0
	s_andn2_b64 exec, exec, s[10:11]
	s_cbranch_execnz .LBB11_286
.LBB11_287:
	s_or_b64 exec, exec, s[8:9]
	v_mov_b32_e32 v3, 0
	global_load_dwordx2 v[0:1], v3, s[2:3] offset:16
	s_mov_b64 s[8:9], exec
	v_mbcnt_lo_u32_b32 v2, s8, 0
	v_mbcnt_hi_u32_b32 v2, s9, v2
	v_cmp_eq_u32_e32 vcc, 0, v2
	s_and_saveexec_b64 s[10:11], vcc
	s_cbranch_execz .LBB11_289
; %bb.288:
	s_bcnt1_i32_b64 s8, s[8:9]
	v_mov_b32_e32 v2, s8
	s_waitcnt vmcnt(0)
	global_atomic_add_x2 v[0:1], v[2:3], off offset:8
.LBB11_289:
	s_or_b64 exec, exec, s[10:11]
	s_waitcnt vmcnt(0)
	global_load_dwordx2 v[2:3], v[0:1], off offset:16
	s_waitcnt vmcnt(0)
	v_cmp_eq_u64_e32 vcc, 0, v[2:3]
	s_cbranch_vccnz .LBB11_291
; %bb.290:
	global_load_dword v0, v[0:1], off offset:24
	v_mov_b32_e32 v1, 0
	s_waitcnt vmcnt(0)
	v_readfirstlane_b32 s8, v0
	s_and_b32 m0, s8, 0xffffff
	global_store_dwordx2 v[2:3], v[0:1], off
	s_sendmsg sendmsg(MSG_INTERRUPT)
.LBB11_291:
	s_or_b64 exec, exec, s[6:7]
	s_branch .LBB11_295
.LBB11_292:                             ;   in Loop: Header=BB11_295 Depth=1
	s_or_b64 exec, exec, s[6:7]
	v_readfirstlane_b32 s6, v0
	s_cmp_eq_u32 s6, 0
	s_cbranch_scc1 .LBB11_294
; %bb.293:                              ;   in Loop: Header=BB11_295 Depth=1
	s_sleep 1
	s_cbranch_execnz .LBB11_295
	s_branch .LBB11_297
.LBB11_294:
	s_branch .LBB11_297
.LBB11_295:                             ; =>This Inner Loop Header: Depth=1
	v_mov_b32_e32 v0, 1
	s_and_saveexec_b64 s[6:7], s[0:1]
	s_cbranch_execz .LBB11_292
; %bb.296:                              ;   in Loop: Header=BB11_295 Depth=1
	global_load_dword v0, v[8:9], off offset:20 glc
	s_waitcnt vmcnt(0)
	buffer_wbinvl1_vol
	v_and_b32_e32 v0, 1, v0
	s_branch .LBB11_292
.LBB11_297:
	global_load_dwordx2 v[0:1], v[10:11], off
	s_and_saveexec_b64 s[6:7], s[0:1]
	s_cbranch_execz .LBB11_300
; %bb.298:
	v_mov_b32_e32 v8, 0
	global_load_dwordx2 v[2:3], v8, s[2:3] offset:40
	global_load_dwordx2 v[11:12], v8, s[2:3] offset:24 glc
	global_load_dwordx2 v[4:5], v8, s[2:3]
	s_waitcnt vmcnt(2)
	v_readfirstlane_b32 s8, v2
	v_readfirstlane_b32 s9, v3
	s_add_u32 s10, s8, 1
	s_addc_u32 s11, s9, 0
	s_add_u32 s0, s10, s4
	s_addc_u32 s1, s11, s5
	s_cmp_eq_u64 s[0:1], 0
	s_cselect_b32 s1, s11, s1
	s_cselect_b32 s0, s10, s0
	s_and_b64 s[4:5], s[0:1], s[8:9]
	s_mul_i32 s5, s5, 24
	s_mul_hi_u32 s8, s4, 24
	s_mul_i32 s4, s4, 24
	s_add_i32 s5, s8, s5
	v_mov_b32_e32 v2, s5
	s_waitcnt vmcnt(0)
	v_add_co_u32_e32 v6, vcc, s4, v4
	v_addc_co_u32_e32 v7, vcc, v5, v2, vcc
	v_mov_b32_e32 v9, s0
	global_store_dwordx2 v[6:7], v[11:12], off
	v_mov_b32_e32 v10, s1
	s_waitcnt vmcnt(0)
	global_atomic_cmpswap_x2 v[4:5], v8, v[9:12], s[2:3] offset:24 glc
	s_mov_b64 s[4:5], 0
	s_waitcnt vmcnt(0)
	v_cmp_ne_u64_e32 vcc, v[4:5], v[11:12]
	s_and_b64 exec, exec, vcc
	s_cbranch_execz .LBB11_300
.LBB11_299:                             ; =>This Inner Loop Header: Depth=1
	s_sleep 1
	global_store_dwordx2 v[6:7], v[4:5], off
	v_mov_b32_e32 v2, s0
	v_mov_b32_e32 v3, s1
	s_waitcnt vmcnt(0)
	global_atomic_cmpswap_x2 v[2:3], v8, v[2:5], s[2:3] offset:24 glc
	s_waitcnt vmcnt(0)
	v_cmp_eq_u64_e32 vcc, v[2:3], v[4:5]
	v_mov_b32_e32 v5, v3
	s_or_b64 s[4:5], vcc, s[4:5]
	v_mov_b32_e32 v4, v2
	s_andn2_b64 exec, exec, s[4:5]
	s_cbranch_execnz .LBB11_299
.LBB11_300:
	s_or_b64 exec, exec, s[6:7]
.LBB11_301:
	s_getpc_b64 s[4:5]
	s_add_u32 s4, s4, __FUNCTION__._ZN9rocsparseL38csr2csr_compress_use_warp_start_deviceILj256ELj32ELj2EfEEvi21rocsparse_index_base_PKT2_PKiS1_PS2_PiPKjS2_@rel32@lo+4
	s_addc_u32 s5, s5, __FUNCTION__._ZN9rocsparseL38csr2csr_compress_use_warp_start_deviceILj256ELj32ELj2EfEEvi21rocsparse_index_base_PKT2_PKiS1_PS2_PiPKjS2_@rel32@hi+12
	s_cmp_lg_u64 s[4:5], 0
	s_cbranch_scc0 .LBB11_386
; %bb.302:
	s_waitcnt vmcnt(0)
	v_and_b32_e32 v29, 2, v0
	v_mov_b32_e32 v26, 0
	v_and_b32_e32 v2, -3, v0
	v_mov_b32_e32 v3, v1
	s_mov_b64 s[6:7], 39
	v_mov_b32_e32 v8, 2
	v_mov_b32_e32 v9, 1
	s_branch .LBB11_304
.LBB11_303:                             ;   in Loop: Header=BB11_304 Depth=1
	s_or_b64 exec, exec, s[12:13]
	s_sub_u32 s6, s6, s8
	s_subb_u32 s7, s7, s9
	s_add_u32 s4, s4, s8
	s_addc_u32 s5, s5, s9
	s_cmp_lg_u64 s[6:7], 0
	s_cbranch_scc0 .LBB11_387
.LBB11_304:                             ; =>This Loop Header: Depth=1
                                        ;     Child Loop BB11_307 Depth 2
                                        ;     Child Loop BB11_315 Depth 2
	;; [unrolled: 1-line block ×11, first 2 shown]
	v_cmp_lt_u64_e64 s[0:1], s[6:7], 56
	v_cmp_gt_u64_e64 s[10:11], s[6:7], 7
	s_and_b64 s[0:1], s[0:1], exec
	s_cselect_b32 s9, s7, 0
	s_cselect_b32 s8, s6, 56
	s_add_u32 s0, s4, 8
	s_addc_u32 s1, s5, 0
	s_and_b64 vcc, exec, s[10:11]
	s_cbranch_vccnz .LBB11_308
; %bb.305:                              ;   in Loop: Header=BB11_304 Depth=1
	s_cmp_eq_u64 s[6:7], 0
	s_cbranch_scc1 .LBB11_309
; %bb.306:                              ;   in Loop: Header=BB11_304 Depth=1
	v_mov_b32_e32 v4, 0
	s_lshl_b64 s[0:1], s[8:9], 3
	s_mov_b64 s[10:11], 0
	v_mov_b32_e32 v5, 0
	s_mov_b64 s[12:13], s[4:5]
.LBB11_307:                             ;   Parent Loop BB11_304 Depth=1
                                        ; =>  This Inner Loop Header: Depth=2
	global_load_ubyte v6, v26, s[12:13]
	s_waitcnt vmcnt(0)
	v_and_b32_e32 v25, 0xffff, v6
	v_lshlrev_b64 v[6:7], s10, v[25:26]
	s_add_u32 s10, s10, 8
	s_addc_u32 s11, s11, 0
	s_add_u32 s12, s12, 1
	s_addc_u32 s13, s13, 0
	v_or_b32_e32 v4, v6, v4
	s_cmp_lg_u32 s0, s10
	v_or_b32_e32 v5, v7, v5
	s_cbranch_scc1 .LBB11_307
	s_branch .LBB11_310
.LBB11_308:                             ;   in Loop: Header=BB11_304 Depth=1
	s_mov_b32 s14, 0
	s_branch .LBB11_311
.LBB11_309:                             ;   in Loop: Header=BB11_304 Depth=1
	v_mov_b32_e32 v4, 0
	v_mov_b32_e32 v5, 0
.LBB11_310:                             ;   in Loop: Header=BB11_304 Depth=1
	s_mov_b64 s[0:1], s[4:5]
	s_mov_b32 s14, 0
	s_cbranch_execnz .LBB11_312
.LBB11_311:                             ;   in Loop: Header=BB11_304 Depth=1
	global_load_dwordx2 v[4:5], v26, s[4:5]
	s_add_i32 s14, s8, -8
.LBB11_312:                             ;   in Loop: Header=BB11_304 Depth=1
	s_add_u32 s10, s0, 8
	s_addc_u32 s11, s1, 0
	s_cmp_gt_u32 s14, 7
	s_cbranch_scc1 .LBB11_316
; %bb.313:                              ;   in Loop: Header=BB11_304 Depth=1
	s_cmp_eq_u32 s14, 0
	s_cbranch_scc1 .LBB11_317
; %bb.314:                              ;   in Loop: Header=BB11_304 Depth=1
	v_mov_b32_e32 v10, 0
	s_mov_b64 s[10:11], 0
	v_mov_b32_e32 v11, 0
	s_mov_b64 s[12:13], 0
.LBB11_315:                             ;   Parent Loop BB11_304 Depth=1
                                        ; =>  This Inner Loop Header: Depth=2
	s_add_u32 s16, s0, s12
	s_addc_u32 s17, s1, s13
	global_load_ubyte v6, v26, s[16:17]
	s_add_u32 s12, s12, 1
	s_addc_u32 s13, s13, 0
	s_waitcnt vmcnt(0)
	v_and_b32_e32 v25, 0xffff, v6
	v_lshlrev_b64 v[6:7], s10, v[25:26]
	s_add_u32 s10, s10, 8
	s_addc_u32 s11, s11, 0
	v_or_b32_e32 v10, v6, v10
	s_cmp_lg_u32 s14, s12
	v_or_b32_e32 v11, v7, v11
	s_cbranch_scc1 .LBB11_315
	s_branch .LBB11_318
.LBB11_316:                             ;   in Loop: Header=BB11_304 Depth=1
                                        ; implicit-def: $vgpr10_vgpr11
	s_mov_b32 s15, 0
	s_branch .LBB11_319
.LBB11_317:                             ;   in Loop: Header=BB11_304 Depth=1
	v_mov_b32_e32 v10, 0
	v_mov_b32_e32 v11, 0
.LBB11_318:                             ;   in Loop: Header=BB11_304 Depth=1
	s_mov_b64 s[10:11], s[0:1]
	s_mov_b32 s15, 0
	s_cbranch_execnz .LBB11_320
.LBB11_319:                             ;   in Loop: Header=BB11_304 Depth=1
	global_load_dwordx2 v[10:11], v26, s[0:1]
	s_add_i32 s15, s14, -8
.LBB11_320:                             ;   in Loop: Header=BB11_304 Depth=1
	s_add_u32 s0, s10, 8
	s_addc_u32 s1, s11, 0
	s_cmp_gt_u32 s15, 7
	s_cbranch_scc1 .LBB11_324
; %bb.321:                              ;   in Loop: Header=BB11_304 Depth=1
	s_cmp_eq_u32 s15, 0
	s_cbranch_scc1 .LBB11_325
; %bb.322:                              ;   in Loop: Header=BB11_304 Depth=1
	v_mov_b32_e32 v12, 0
	s_mov_b64 s[0:1], 0
	v_mov_b32_e32 v13, 0
	s_mov_b64 s[12:13], 0
.LBB11_323:                             ;   Parent Loop BB11_304 Depth=1
                                        ; =>  This Inner Loop Header: Depth=2
	s_add_u32 s16, s10, s12
	s_addc_u32 s17, s11, s13
	global_load_ubyte v6, v26, s[16:17]
	s_add_u32 s12, s12, 1
	s_addc_u32 s13, s13, 0
	s_waitcnt vmcnt(0)
	v_and_b32_e32 v25, 0xffff, v6
	v_lshlrev_b64 v[6:7], s0, v[25:26]
	s_add_u32 s0, s0, 8
	s_addc_u32 s1, s1, 0
	v_or_b32_e32 v12, v6, v12
	s_cmp_lg_u32 s15, s12
	v_or_b32_e32 v13, v7, v13
	s_cbranch_scc1 .LBB11_323
	s_branch .LBB11_326
.LBB11_324:                             ;   in Loop: Header=BB11_304 Depth=1
	s_mov_b32 s14, 0
	s_branch .LBB11_327
.LBB11_325:                             ;   in Loop: Header=BB11_304 Depth=1
	v_mov_b32_e32 v12, 0
	v_mov_b32_e32 v13, 0
.LBB11_326:                             ;   in Loop: Header=BB11_304 Depth=1
	s_mov_b64 s[0:1], s[10:11]
	s_mov_b32 s14, 0
	s_cbranch_execnz .LBB11_328
.LBB11_327:                             ;   in Loop: Header=BB11_304 Depth=1
	global_load_dwordx2 v[12:13], v26, s[10:11]
	s_add_i32 s14, s15, -8
.LBB11_328:                             ;   in Loop: Header=BB11_304 Depth=1
	s_add_u32 s10, s0, 8
	s_addc_u32 s11, s1, 0
	s_cmp_gt_u32 s14, 7
	s_cbranch_scc1 .LBB11_332
; %bb.329:                              ;   in Loop: Header=BB11_304 Depth=1
	s_cmp_eq_u32 s14, 0
	s_cbranch_scc1 .LBB11_333
; %bb.330:                              ;   in Loop: Header=BB11_304 Depth=1
	v_mov_b32_e32 v14, 0
	s_mov_b64 s[10:11], 0
	v_mov_b32_e32 v15, 0
	s_mov_b64 s[12:13], 0
.LBB11_331:                             ;   Parent Loop BB11_304 Depth=1
                                        ; =>  This Inner Loop Header: Depth=2
	s_add_u32 s16, s0, s12
	s_addc_u32 s17, s1, s13
	global_load_ubyte v6, v26, s[16:17]
	s_add_u32 s12, s12, 1
	s_addc_u32 s13, s13, 0
	s_waitcnt vmcnt(0)
	v_and_b32_e32 v25, 0xffff, v6
	v_lshlrev_b64 v[6:7], s10, v[25:26]
	s_add_u32 s10, s10, 8
	s_addc_u32 s11, s11, 0
	v_or_b32_e32 v14, v6, v14
	s_cmp_lg_u32 s14, s12
	v_or_b32_e32 v15, v7, v15
	s_cbranch_scc1 .LBB11_331
	s_branch .LBB11_334
.LBB11_332:                             ;   in Loop: Header=BB11_304 Depth=1
                                        ; implicit-def: $vgpr14_vgpr15
	s_mov_b32 s15, 0
	s_branch .LBB11_335
.LBB11_333:                             ;   in Loop: Header=BB11_304 Depth=1
	v_mov_b32_e32 v14, 0
	v_mov_b32_e32 v15, 0
.LBB11_334:                             ;   in Loop: Header=BB11_304 Depth=1
	s_mov_b64 s[10:11], s[0:1]
	s_mov_b32 s15, 0
	s_cbranch_execnz .LBB11_336
.LBB11_335:                             ;   in Loop: Header=BB11_304 Depth=1
	global_load_dwordx2 v[14:15], v26, s[0:1]
	s_add_i32 s15, s14, -8
.LBB11_336:                             ;   in Loop: Header=BB11_304 Depth=1
	s_add_u32 s0, s10, 8
	s_addc_u32 s1, s11, 0
	s_cmp_gt_u32 s15, 7
	s_cbranch_scc1 .LBB11_340
; %bb.337:                              ;   in Loop: Header=BB11_304 Depth=1
	s_cmp_eq_u32 s15, 0
	s_cbranch_scc1 .LBB11_341
; %bb.338:                              ;   in Loop: Header=BB11_304 Depth=1
	v_mov_b32_e32 v16, 0
	s_mov_b64 s[0:1], 0
	v_mov_b32_e32 v17, 0
	s_mov_b64 s[12:13], 0
.LBB11_339:                             ;   Parent Loop BB11_304 Depth=1
                                        ; =>  This Inner Loop Header: Depth=2
	s_add_u32 s16, s10, s12
	s_addc_u32 s17, s11, s13
	global_load_ubyte v6, v26, s[16:17]
	s_add_u32 s12, s12, 1
	s_addc_u32 s13, s13, 0
	s_waitcnt vmcnt(0)
	v_and_b32_e32 v25, 0xffff, v6
	v_lshlrev_b64 v[6:7], s0, v[25:26]
	s_add_u32 s0, s0, 8
	s_addc_u32 s1, s1, 0
	v_or_b32_e32 v16, v6, v16
	s_cmp_lg_u32 s15, s12
	v_or_b32_e32 v17, v7, v17
	s_cbranch_scc1 .LBB11_339
	s_branch .LBB11_342
.LBB11_340:                             ;   in Loop: Header=BB11_304 Depth=1
	s_mov_b32 s14, 0
	s_branch .LBB11_343
.LBB11_341:                             ;   in Loop: Header=BB11_304 Depth=1
	v_mov_b32_e32 v16, 0
	v_mov_b32_e32 v17, 0
.LBB11_342:                             ;   in Loop: Header=BB11_304 Depth=1
	s_mov_b64 s[0:1], s[10:11]
	s_mov_b32 s14, 0
	s_cbranch_execnz .LBB11_344
.LBB11_343:                             ;   in Loop: Header=BB11_304 Depth=1
	global_load_dwordx2 v[16:17], v26, s[10:11]
	s_add_i32 s14, s15, -8
.LBB11_344:                             ;   in Loop: Header=BB11_304 Depth=1
	s_add_u32 s10, s0, 8
	s_addc_u32 s11, s1, 0
	s_cmp_gt_u32 s14, 7
	s_cbranch_scc1 .LBB11_348
; %bb.345:                              ;   in Loop: Header=BB11_304 Depth=1
	s_cmp_eq_u32 s14, 0
	s_cbranch_scc1 .LBB11_349
; %bb.346:                              ;   in Loop: Header=BB11_304 Depth=1
	v_mov_b32_e32 v18, 0
	s_mov_b64 s[10:11], 0
	v_mov_b32_e32 v19, 0
	s_mov_b64 s[12:13], 0
.LBB11_347:                             ;   Parent Loop BB11_304 Depth=1
                                        ; =>  This Inner Loop Header: Depth=2
	s_add_u32 s16, s0, s12
	s_addc_u32 s17, s1, s13
	global_load_ubyte v6, v26, s[16:17]
	s_add_u32 s12, s12, 1
	s_addc_u32 s13, s13, 0
	s_waitcnt vmcnt(0)
	v_and_b32_e32 v25, 0xffff, v6
	v_lshlrev_b64 v[6:7], s10, v[25:26]
	s_add_u32 s10, s10, 8
	s_addc_u32 s11, s11, 0
	v_or_b32_e32 v18, v6, v18
	s_cmp_lg_u32 s14, s12
	v_or_b32_e32 v19, v7, v19
	s_cbranch_scc1 .LBB11_347
	s_branch .LBB11_350
.LBB11_348:                             ;   in Loop: Header=BB11_304 Depth=1
                                        ; implicit-def: $vgpr18_vgpr19
	s_mov_b32 s15, 0
	s_branch .LBB11_351
.LBB11_349:                             ;   in Loop: Header=BB11_304 Depth=1
	v_mov_b32_e32 v18, 0
	v_mov_b32_e32 v19, 0
.LBB11_350:                             ;   in Loop: Header=BB11_304 Depth=1
	s_mov_b64 s[10:11], s[0:1]
	s_mov_b32 s15, 0
	s_cbranch_execnz .LBB11_352
.LBB11_351:                             ;   in Loop: Header=BB11_304 Depth=1
	global_load_dwordx2 v[18:19], v26, s[0:1]
	s_add_i32 s15, s14, -8
.LBB11_352:                             ;   in Loop: Header=BB11_304 Depth=1
	s_cmp_gt_u32 s15, 7
	s_cbranch_scc1 .LBB11_356
; %bb.353:                              ;   in Loop: Header=BB11_304 Depth=1
	s_cmp_eq_u32 s15, 0
	s_cbranch_scc1 .LBB11_357
; %bb.354:                              ;   in Loop: Header=BB11_304 Depth=1
	v_mov_b32_e32 v20, 0
	s_mov_b64 s[0:1], 0
	v_mov_b32_e32 v21, 0
	s_mov_b64 s[12:13], s[10:11]
.LBB11_355:                             ;   Parent Loop BB11_304 Depth=1
                                        ; =>  This Inner Loop Header: Depth=2
	global_load_ubyte v6, v26, s[12:13]
	s_add_i32 s15, s15, -1
	s_waitcnt vmcnt(0)
	v_and_b32_e32 v25, 0xffff, v6
	v_lshlrev_b64 v[6:7], s0, v[25:26]
	s_add_u32 s0, s0, 8
	s_addc_u32 s1, s1, 0
	s_add_u32 s12, s12, 1
	s_addc_u32 s13, s13, 0
	v_or_b32_e32 v20, v6, v20
	s_cmp_lg_u32 s15, 0
	v_or_b32_e32 v21, v7, v21
	s_cbranch_scc1 .LBB11_355
	s_branch .LBB11_358
.LBB11_356:                             ;   in Loop: Header=BB11_304 Depth=1
	s_branch .LBB11_359
.LBB11_357:                             ;   in Loop: Header=BB11_304 Depth=1
	v_mov_b32_e32 v20, 0
	v_mov_b32_e32 v21, 0
.LBB11_358:                             ;   in Loop: Header=BB11_304 Depth=1
	s_cbranch_execnz .LBB11_360
.LBB11_359:                             ;   in Loop: Header=BB11_304 Depth=1
	global_load_dwordx2 v[20:21], v26, s[10:11]
.LBB11_360:                             ;   in Loop: Header=BB11_304 Depth=1
	v_readfirstlane_b32 s0, v32
	v_mov_b32_e32 v6, 0
	v_mov_b32_e32 v7, 0
	v_cmp_eq_u32_e64 s[0:1], s0, v32
	s_and_saveexec_b64 s[10:11], s[0:1]
	s_cbranch_execz .LBB11_366
; %bb.361:                              ;   in Loop: Header=BB11_304 Depth=1
	global_load_dwordx2 v[24:25], v26, s[2:3] offset:24 glc
	s_waitcnt vmcnt(0)
	buffer_wbinvl1_vol
	global_load_dwordx2 v[6:7], v26, s[2:3] offset:40
	global_load_dwordx2 v[22:23], v26, s[2:3]
	s_waitcnt vmcnt(1)
	v_and_b32_e32 v6, v6, v24
	v_and_b32_e32 v7, v7, v25
	v_mul_lo_u32 v7, v7, 24
	v_mul_hi_u32 v27, v6, 24
	v_mul_lo_u32 v6, v6, 24
	v_add_u32_e32 v7, v27, v7
	s_waitcnt vmcnt(0)
	v_add_co_u32_e32 v6, vcc, v22, v6
	v_addc_co_u32_e32 v7, vcc, v23, v7, vcc
	global_load_dwordx2 v[22:23], v[6:7], off glc
	s_waitcnt vmcnt(0)
	global_atomic_cmpswap_x2 v[6:7], v26, v[22:25], s[2:3] offset:24 glc
	s_waitcnt vmcnt(0)
	buffer_wbinvl1_vol
	v_cmp_ne_u64_e32 vcc, v[6:7], v[24:25]
	s_and_saveexec_b64 s[12:13], vcc
	s_cbranch_execz .LBB11_365
; %bb.362:                              ;   in Loop: Header=BB11_304 Depth=1
	s_mov_b64 s[14:15], 0
.LBB11_363:                             ;   Parent Loop BB11_304 Depth=1
                                        ; =>  This Inner Loop Header: Depth=2
	s_sleep 1
	global_load_dwordx2 v[22:23], v26, s[2:3] offset:40
	global_load_dwordx2 v[27:28], v26, s[2:3]
	v_mov_b32_e32 v25, v7
	v_mov_b32_e32 v24, v6
	s_waitcnt vmcnt(1)
	v_and_b32_e32 v6, v22, v24
	s_waitcnt vmcnt(0)
	v_mad_u64_u32 v[6:7], s[16:17], v6, 24, v[27:28]
	v_and_b32_e32 v22, v23, v25
	v_mad_u64_u32 v[22:23], s[16:17], v22, 24, v[7:8]
	v_mov_b32_e32 v7, v22
	global_load_dwordx2 v[22:23], v[6:7], off glc
	s_waitcnt vmcnt(0)
	global_atomic_cmpswap_x2 v[6:7], v26, v[22:25], s[2:3] offset:24 glc
	s_waitcnt vmcnt(0)
	buffer_wbinvl1_vol
	v_cmp_eq_u64_e32 vcc, v[6:7], v[24:25]
	s_or_b64 s[14:15], vcc, s[14:15]
	s_andn2_b64 exec, exec, s[14:15]
	s_cbranch_execnz .LBB11_363
; %bb.364:                              ;   in Loop: Header=BB11_304 Depth=1
	s_or_b64 exec, exec, s[14:15]
.LBB11_365:                             ;   in Loop: Header=BB11_304 Depth=1
	s_or_b64 exec, exec, s[12:13]
.LBB11_366:                             ;   in Loop: Header=BB11_304 Depth=1
	s_or_b64 exec, exec, s[10:11]
	global_load_dwordx2 v[27:28], v26, s[2:3] offset:40
	global_load_dwordx4 v[22:25], v26, s[2:3]
	v_readfirstlane_b32 s11, v7
	v_readfirstlane_b32 s10, v6
	s_mov_b64 s[12:13], exec
	s_waitcnt vmcnt(1)
	v_readfirstlane_b32 s14, v27
	v_readfirstlane_b32 s15, v28
	s_and_b64 s[14:15], s[14:15], s[10:11]
	s_mul_i32 s16, s15, 24
	s_mul_hi_u32 s17, s14, 24
	s_mul_i32 s18, s14, 24
	s_add_i32 s16, s17, s16
	v_mov_b32_e32 v6, s16
	s_waitcnt vmcnt(0)
	v_add_co_u32_e32 v27, vcc, s18, v22
	v_addc_co_u32_e32 v28, vcc, v23, v6, vcc
	s_and_saveexec_b64 s[16:17], s[0:1]
	s_cbranch_execz .LBB11_368
; %bb.367:                              ;   in Loop: Header=BB11_304 Depth=1
	v_mov_b32_e32 v6, s12
	v_mov_b32_e32 v7, s13
	global_store_dwordx4 v[27:28], v[6:9], off offset:8
.LBB11_368:                             ;   in Loop: Header=BB11_304 Depth=1
	s_or_b64 exec, exec, s[16:17]
	s_lshl_b64 s[12:13], s[14:15], 12
	v_mov_b32_e32 v6, s13
	v_add_co_u32_e32 v24, vcc, s12, v24
	v_addc_co_u32_e32 v30, vcc, v25, v6, vcc
	v_cmp_lt_u64_e64 vcc, s[6:7], 57
	s_lshl_b32 s12, s8, 2
	v_cndmask_b32_e32 v6, 0, v29, vcc
	s_add_i32 s12, s12, 28
	v_and_b32_e32 v2, 0xffffff1f, v2
	s_and_b32 s12, s12, 0x1e0
	v_or_b32_e32 v2, v2, v6
	v_or_b32_e32 v2, s12, v2
	v_readfirstlane_b32 s12, v24
	v_readfirstlane_b32 s13, v30
	s_nop 4
	global_store_dwordx4 v31, v[2:5], s[12:13]
	global_store_dwordx4 v31, v[10:13], s[12:13] offset:16
	global_store_dwordx4 v31, v[14:17], s[12:13] offset:32
	;; [unrolled: 1-line block ×3, first 2 shown]
	s_and_saveexec_b64 s[12:13], s[0:1]
	s_cbranch_execz .LBB11_376
; %bb.369:                              ;   in Loop: Header=BB11_304 Depth=1
	global_load_dwordx2 v[12:13], v26, s[2:3] offset:32 glc
	global_load_dwordx2 v[2:3], v26, s[2:3] offset:40
	v_mov_b32_e32 v10, s10
	v_mov_b32_e32 v11, s11
	s_waitcnt vmcnt(0)
	v_readfirstlane_b32 s14, v2
	v_readfirstlane_b32 s15, v3
	s_and_b64 s[14:15], s[14:15], s[10:11]
	s_mul_i32 s15, s15, 24
	s_mul_hi_u32 s16, s14, 24
	s_mul_i32 s14, s14, 24
	s_add_i32 s15, s16, s15
	v_mov_b32_e32 v2, s15
	v_add_co_u32_e32 v6, vcc, s14, v22
	v_addc_co_u32_e32 v7, vcc, v23, v2, vcc
	global_store_dwordx2 v[6:7], v[12:13], off
	s_waitcnt vmcnt(0)
	global_atomic_cmpswap_x2 v[4:5], v26, v[10:13], s[2:3] offset:32 glc
	s_waitcnt vmcnt(0)
	v_cmp_ne_u64_e32 vcc, v[4:5], v[12:13]
	s_and_saveexec_b64 s[14:15], vcc
	s_cbranch_execz .LBB11_372
; %bb.370:                              ;   in Loop: Header=BB11_304 Depth=1
	s_mov_b64 s[16:17], 0
.LBB11_371:                             ;   Parent Loop BB11_304 Depth=1
                                        ; =>  This Inner Loop Header: Depth=2
	s_sleep 1
	global_store_dwordx2 v[6:7], v[4:5], off
	v_mov_b32_e32 v2, s10
	v_mov_b32_e32 v3, s11
	s_waitcnt vmcnt(0)
	global_atomic_cmpswap_x2 v[2:3], v26, v[2:5], s[2:3] offset:32 glc
	s_waitcnt vmcnt(0)
	v_cmp_eq_u64_e32 vcc, v[2:3], v[4:5]
	v_mov_b32_e32 v5, v3
	s_or_b64 s[16:17], vcc, s[16:17]
	v_mov_b32_e32 v4, v2
	s_andn2_b64 exec, exec, s[16:17]
	s_cbranch_execnz .LBB11_371
.LBB11_372:                             ;   in Loop: Header=BB11_304 Depth=1
	s_or_b64 exec, exec, s[14:15]
	global_load_dwordx2 v[2:3], v26, s[2:3] offset:16
	s_mov_b64 s[16:17], exec
	v_mbcnt_lo_u32_b32 v4, s16, 0
	v_mbcnt_hi_u32_b32 v4, s17, v4
	v_cmp_eq_u32_e32 vcc, 0, v4
	s_and_saveexec_b64 s[14:15], vcc
	s_cbranch_execz .LBB11_374
; %bb.373:                              ;   in Loop: Header=BB11_304 Depth=1
	s_bcnt1_i32_b64 s16, s[16:17]
	v_mov_b32_e32 v25, s16
	s_waitcnt vmcnt(0)
	global_atomic_add_x2 v[2:3], v[25:26], off offset:8
.LBB11_374:                             ;   in Loop: Header=BB11_304 Depth=1
	s_or_b64 exec, exec, s[14:15]
	s_waitcnt vmcnt(0)
	global_load_dwordx2 v[4:5], v[2:3], off offset:16
	s_waitcnt vmcnt(0)
	v_cmp_eq_u64_e32 vcc, 0, v[4:5]
	s_cbranch_vccnz .LBB11_376
; %bb.375:                              ;   in Loop: Header=BB11_304 Depth=1
	global_load_dword v25, v[2:3], off offset:24
	s_waitcnt vmcnt(0)
	v_readfirstlane_b32 s14, v25
	s_and_b32 m0, s14, 0xffffff
	global_store_dwordx2 v[4:5], v[25:26], off
	s_sendmsg sendmsg(MSG_INTERRUPT)
.LBB11_376:                             ;   in Loop: Header=BB11_304 Depth=1
	s_or_b64 exec, exec, s[12:13]
	v_add_co_u32_e32 v2, vcc, v24, v31
	v_addc_co_u32_e32 v3, vcc, 0, v30, vcc
	s_branch .LBB11_380
.LBB11_377:                             ;   in Loop: Header=BB11_380 Depth=2
	s_or_b64 exec, exec, s[12:13]
	v_readfirstlane_b32 s12, v4
	s_cmp_eq_u32 s12, 0
	s_cbranch_scc1 .LBB11_379
; %bb.378:                              ;   in Loop: Header=BB11_380 Depth=2
	s_sleep 1
	s_cbranch_execnz .LBB11_380
	s_branch .LBB11_382
.LBB11_379:                             ;   in Loop: Header=BB11_304 Depth=1
	s_branch .LBB11_382
.LBB11_380:                             ;   Parent Loop BB11_304 Depth=1
                                        ; =>  This Inner Loop Header: Depth=2
	v_mov_b32_e32 v4, 1
	s_and_saveexec_b64 s[12:13], s[0:1]
	s_cbranch_execz .LBB11_377
; %bb.381:                              ;   in Loop: Header=BB11_380 Depth=2
	global_load_dword v4, v[27:28], off offset:20 glc
	s_waitcnt vmcnt(0)
	buffer_wbinvl1_vol
	v_and_b32_e32 v4, 1, v4
	s_branch .LBB11_377
.LBB11_382:                             ;   in Loop: Header=BB11_304 Depth=1
	global_load_dwordx2 v[2:3], v[2:3], off
	s_and_saveexec_b64 s[12:13], s[0:1]
	s_cbranch_execz .LBB11_303
; %bb.383:                              ;   in Loop: Header=BB11_304 Depth=1
	global_load_dwordx2 v[4:5], v26, s[2:3] offset:40
	global_load_dwordx2 v[14:15], v26, s[2:3] offset:24 glc
	global_load_dwordx2 v[6:7], v26, s[2:3]
	s_waitcnt vmcnt(2)
	v_readfirstlane_b32 s14, v4
	v_readfirstlane_b32 s15, v5
	s_add_u32 s16, s14, 1
	s_addc_u32 s17, s15, 0
	s_add_u32 s0, s16, s10
	s_addc_u32 s1, s17, s11
	s_cmp_eq_u64 s[0:1], 0
	s_cselect_b32 s1, s17, s1
	s_cselect_b32 s0, s16, s0
	s_and_b64 s[10:11], s[0:1], s[14:15]
	s_mul_i32 s11, s11, 24
	s_mul_hi_u32 s14, s10, 24
	s_mul_i32 s10, s10, 24
	s_add_i32 s11, s14, s11
	v_mov_b32_e32 v4, s11
	s_waitcnt vmcnt(0)
	v_add_co_u32_e32 v10, vcc, s10, v6
	v_addc_co_u32_e32 v11, vcc, v7, v4, vcc
	v_mov_b32_e32 v12, s0
	global_store_dwordx2 v[10:11], v[14:15], off
	v_mov_b32_e32 v13, s1
	s_waitcnt vmcnt(0)
	global_atomic_cmpswap_x2 v[6:7], v26, v[12:15], s[2:3] offset:24 glc
	s_waitcnt vmcnt(0)
	v_cmp_ne_u64_e32 vcc, v[6:7], v[14:15]
	s_and_b64 exec, exec, vcc
	s_cbranch_execz .LBB11_303
; %bb.384:                              ;   in Loop: Header=BB11_304 Depth=1
	s_mov_b64 s[10:11], 0
.LBB11_385:                             ;   Parent Loop BB11_304 Depth=1
                                        ; =>  This Inner Loop Header: Depth=2
	s_sleep 1
	global_store_dwordx2 v[10:11], v[6:7], off
	v_mov_b32_e32 v4, s0
	v_mov_b32_e32 v5, s1
	s_waitcnt vmcnt(0)
	global_atomic_cmpswap_x2 v[4:5], v26, v[4:7], s[2:3] offset:24 glc
	s_waitcnt vmcnt(0)
	v_cmp_eq_u64_e32 vcc, v[4:5], v[6:7]
	v_mov_b32_e32 v7, v5
	s_or_b64 s[10:11], vcc, s[10:11]
	v_mov_b32_e32 v6, v4
	s_andn2_b64 exec, exec, s[10:11]
	s_cbranch_execnz .LBB11_385
	s_branch .LBB11_303
.LBB11_386:
	s_mov_b64 s[0:1], -1
                                        ; implicit-def: $vgpr2_vgpr3
	s_branch .LBB11_388
.LBB11_387:
	s_mov_b64 s[0:1], 0
.LBB11_388:
	s_and_b64 vcc, exec, s[0:1]
	s_cbranch_vccz .LBB11_415
; %bb.389:
	v_readfirstlane_b32 s0, v32
	v_mov_b32_e32 v8, 0
	v_mov_b32_e32 v9, 0
	v_cmp_eq_u32_e64 s[0:1], s0, v32
	s_and_saveexec_b64 s[4:5], s[0:1]
	s_cbranch_execz .LBB11_395
; %bb.390:
	s_waitcnt vmcnt(0)
	v_mov_b32_e32 v2, 0
	global_load_dwordx2 v[5:6], v2, s[2:3] offset:24 glc
	s_waitcnt vmcnt(0)
	buffer_wbinvl1_vol
	global_load_dwordx2 v[3:4], v2, s[2:3] offset:40
	global_load_dwordx2 v[7:8], v2, s[2:3]
	s_waitcnt vmcnt(1)
	v_and_b32_e32 v3, v3, v5
	v_and_b32_e32 v4, v4, v6
	v_mul_lo_u32 v4, v4, 24
	v_mul_hi_u32 v9, v3, 24
	v_mul_lo_u32 v3, v3, 24
	v_add_u32_e32 v4, v9, v4
	s_waitcnt vmcnt(0)
	v_add_co_u32_e32 v3, vcc, v7, v3
	v_addc_co_u32_e32 v4, vcc, v8, v4, vcc
	global_load_dwordx2 v[3:4], v[3:4], off glc
	s_waitcnt vmcnt(0)
	global_atomic_cmpswap_x2 v[8:9], v2, v[3:6], s[2:3] offset:24 glc
	s_waitcnt vmcnt(0)
	buffer_wbinvl1_vol
	v_cmp_ne_u64_e32 vcc, v[8:9], v[5:6]
	s_and_saveexec_b64 s[6:7], vcc
	s_cbranch_execz .LBB11_394
; %bb.391:
	s_mov_b64 s[8:9], 0
.LBB11_392:                             ; =>This Inner Loop Header: Depth=1
	s_sleep 1
	global_load_dwordx2 v[3:4], v2, s[2:3] offset:40
	global_load_dwordx2 v[10:11], v2, s[2:3]
	v_mov_b32_e32 v5, v8
	v_mov_b32_e32 v6, v9
	s_waitcnt vmcnt(1)
	v_and_b32_e32 v3, v3, v5
	s_waitcnt vmcnt(0)
	v_mad_u64_u32 v[7:8], s[10:11], v3, 24, v[10:11]
	v_and_b32_e32 v4, v4, v6
	v_mov_b32_e32 v3, v8
	v_mad_u64_u32 v[3:4], s[10:11], v4, 24, v[3:4]
	v_mov_b32_e32 v8, v3
	global_load_dwordx2 v[3:4], v[7:8], off glc
	s_waitcnt vmcnt(0)
	global_atomic_cmpswap_x2 v[8:9], v2, v[3:6], s[2:3] offset:24 glc
	s_waitcnt vmcnt(0)
	buffer_wbinvl1_vol
	v_cmp_eq_u64_e32 vcc, v[8:9], v[5:6]
	s_or_b64 s[8:9], vcc, s[8:9]
	s_andn2_b64 exec, exec, s[8:9]
	s_cbranch_execnz .LBB11_392
; %bb.393:
	s_or_b64 exec, exec, s[8:9]
.LBB11_394:
	s_or_b64 exec, exec, s[6:7]
.LBB11_395:
	s_or_b64 exec, exec, s[4:5]
	s_waitcnt vmcnt(0)
	v_mov_b32_e32 v2, 0
	global_load_dwordx2 v[10:11], v2, s[2:3] offset:40
	global_load_dwordx4 v[4:7], v2, s[2:3]
	v_readfirstlane_b32 s5, v9
	v_readfirstlane_b32 s4, v8
	s_mov_b64 s[6:7], exec
	s_waitcnt vmcnt(1)
	v_readfirstlane_b32 s8, v10
	v_readfirstlane_b32 s9, v11
	s_and_b64 s[8:9], s[8:9], s[4:5]
	s_mul_i32 s10, s9, 24
	s_mul_hi_u32 s11, s8, 24
	s_mul_i32 s12, s8, 24
	s_add_i32 s10, s11, s10
	v_mov_b32_e32 v3, s10
	s_waitcnt vmcnt(0)
	v_add_co_u32_e32 v8, vcc, s12, v4
	v_addc_co_u32_e32 v9, vcc, v5, v3, vcc
	s_and_saveexec_b64 s[10:11], s[0:1]
	s_cbranch_execz .LBB11_397
; %bb.396:
	v_mov_b32_e32 v11, s7
	v_mov_b32_e32 v10, s6
	;; [unrolled: 1-line block ×4, first 2 shown]
	global_store_dwordx4 v[8:9], v[10:13], off offset:8
.LBB11_397:
	s_or_b64 exec, exec, s[10:11]
	s_lshl_b64 s[6:7], s[8:9], 12
	v_mov_b32_e32 v3, s7
	v_add_co_u32_e32 v10, vcc, s6, v6
	v_addc_co_u32_e32 v11, vcc, v7, v3, vcc
	s_movk_i32 s6, 0xff1f
	v_and_or_b32 v0, v0, s6, 32
	s_mov_b32 s8, 0
	v_mov_b32_e32 v3, v2
	v_readfirstlane_b32 s6, v10
	v_readfirstlane_b32 s7, v11
	v_add_co_u32_e32 v6, vcc, v10, v31
	s_mov_b32 s9, s8
	s_mov_b32 s10, s8
	;; [unrolled: 1-line block ×3, first 2 shown]
	s_nop 0
	global_store_dwordx4 v31, v[0:3], s[6:7]
	v_addc_co_u32_e32 v7, vcc, 0, v11, vcc
	v_mov_b32_e32 v0, s8
	v_mov_b32_e32 v1, s9
	;; [unrolled: 1-line block ×4, first 2 shown]
	global_store_dwordx4 v31, v[0:3], s[6:7] offset:16
	global_store_dwordx4 v31, v[0:3], s[6:7] offset:32
	global_store_dwordx4 v31, v[0:3], s[6:7] offset:48
	s_and_saveexec_b64 s[6:7], s[0:1]
	s_cbranch_execz .LBB11_405
; %bb.398:
	v_mov_b32_e32 v10, 0
	global_load_dwordx2 v[13:14], v10, s[2:3] offset:32 glc
	global_load_dwordx2 v[0:1], v10, s[2:3] offset:40
	v_mov_b32_e32 v11, s4
	v_mov_b32_e32 v12, s5
	s_waitcnt vmcnt(0)
	v_readfirstlane_b32 s8, v0
	v_readfirstlane_b32 s9, v1
	s_and_b64 s[8:9], s[8:9], s[4:5]
	s_mul_i32 s9, s9, 24
	s_mul_hi_u32 s10, s8, 24
	s_mul_i32 s8, s8, 24
	s_add_i32 s9, s10, s9
	v_mov_b32_e32 v0, s9
	v_add_co_u32_e32 v4, vcc, s8, v4
	v_addc_co_u32_e32 v5, vcc, v5, v0, vcc
	global_store_dwordx2 v[4:5], v[13:14], off
	s_waitcnt vmcnt(0)
	global_atomic_cmpswap_x2 v[2:3], v10, v[11:14], s[2:3] offset:32 glc
	s_waitcnt vmcnt(0)
	v_cmp_ne_u64_e32 vcc, v[2:3], v[13:14]
	s_and_saveexec_b64 s[8:9], vcc
	s_cbranch_execz .LBB11_401
; %bb.399:
	s_mov_b64 s[10:11], 0
.LBB11_400:                             ; =>This Inner Loop Header: Depth=1
	s_sleep 1
	global_store_dwordx2 v[4:5], v[2:3], off
	v_mov_b32_e32 v0, s4
	v_mov_b32_e32 v1, s5
	s_waitcnt vmcnt(0)
	global_atomic_cmpswap_x2 v[0:1], v10, v[0:3], s[2:3] offset:32 glc
	s_waitcnt vmcnt(0)
	v_cmp_eq_u64_e32 vcc, v[0:1], v[2:3]
	v_mov_b32_e32 v3, v1
	s_or_b64 s[10:11], vcc, s[10:11]
	v_mov_b32_e32 v2, v0
	s_andn2_b64 exec, exec, s[10:11]
	s_cbranch_execnz .LBB11_400
.LBB11_401:
	s_or_b64 exec, exec, s[8:9]
	v_mov_b32_e32 v3, 0
	global_load_dwordx2 v[0:1], v3, s[2:3] offset:16
	s_mov_b64 s[8:9], exec
	v_mbcnt_lo_u32_b32 v2, s8, 0
	v_mbcnt_hi_u32_b32 v2, s9, v2
	v_cmp_eq_u32_e32 vcc, 0, v2
	s_and_saveexec_b64 s[10:11], vcc
	s_cbranch_execz .LBB11_403
; %bb.402:
	s_bcnt1_i32_b64 s8, s[8:9]
	v_mov_b32_e32 v2, s8
	s_waitcnt vmcnt(0)
	global_atomic_add_x2 v[0:1], v[2:3], off offset:8
.LBB11_403:
	s_or_b64 exec, exec, s[10:11]
	s_waitcnt vmcnt(0)
	global_load_dwordx2 v[2:3], v[0:1], off offset:16
	s_waitcnt vmcnt(0)
	v_cmp_eq_u64_e32 vcc, 0, v[2:3]
	s_cbranch_vccnz .LBB11_405
; %bb.404:
	global_load_dword v0, v[0:1], off offset:24
	v_mov_b32_e32 v1, 0
	s_waitcnt vmcnt(0)
	v_readfirstlane_b32 s8, v0
	s_and_b32 m0, s8, 0xffffff
	global_store_dwordx2 v[2:3], v[0:1], off
	s_sendmsg sendmsg(MSG_INTERRUPT)
.LBB11_405:
	s_or_b64 exec, exec, s[6:7]
	s_branch .LBB11_409
.LBB11_406:                             ;   in Loop: Header=BB11_409 Depth=1
	s_or_b64 exec, exec, s[6:7]
	v_readfirstlane_b32 s6, v0
	s_cmp_eq_u32 s6, 0
	s_cbranch_scc1 .LBB11_408
; %bb.407:                              ;   in Loop: Header=BB11_409 Depth=1
	s_sleep 1
	s_cbranch_execnz .LBB11_409
	s_branch .LBB11_411
.LBB11_408:
	s_branch .LBB11_411
.LBB11_409:                             ; =>This Inner Loop Header: Depth=1
	v_mov_b32_e32 v0, 1
	s_and_saveexec_b64 s[6:7], s[0:1]
	s_cbranch_execz .LBB11_406
; %bb.410:                              ;   in Loop: Header=BB11_409 Depth=1
	global_load_dword v0, v[8:9], off offset:20 glc
	s_waitcnt vmcnt(0)
	buffer_wbinvl1_vol
	v_and_b32_e32 v0, 1, v0
	s_branch .LBB11_406
.LBB11_411:
	global_load_dwordx2 v[2:3], v[6:7], off
	s_and_saveexec_b64 s[6:7], s[0:1]
	s_cbranch_execz .LBB11_414
; %bb.412:
	v_mov_b32_e32 v8, 0
	global_load_dwordx2 v[0:1], v8, s[2:3] offset:40
	global_load_dwordx2 v[11:12], v8, s[2:3] offset:24 glc
	global_load_dwordx2 v[4:5], v8, s[2:3]
	s_waitcnt vmcnt(2)
	v_readfirstlane_b32 s8, v0
	v_readfirstlane_b32 s9, v1
	s_add_u32 s10, s8, 1
	s_addc_u32 s11, s9, 0
	s_add_u32 s0, s10, s4
	s_addc_u32 s1, s11, s5
	s_cmp_eq_u64 s[0:1], 0
	s_cselect_b32 s1, s11, s1
	s_cselect_b32 s0, s10, s0
	s_and_b64 s[4:5], s[0:1], s[8:9]
	s_mul_i32 s5, s5, 24
	s_mul_hi_u32 s8, s4, 24
	s_mul_i32 s4, s4, 24
	s_add_i32 s5, s8, s5
	v_mov_b32_e32 v1, s5
	s_waitcnt vmcnt(0)
	v_add_co_u32_e32 v0, vcc, s4, v4
	v_addc_co_u32_e32 v1, vcc, v5, v1, vcc
	v_mov_b32_e32 v9, s0
	global_store_dwordx2 v[0:1], v[11:12], off
	v_mov_b32_e32 v10, s1
	s_waitcnt vmcnt(0)
	global_atomic_cmpswap_x2 v[6:7], v8, v[9:12], s[2:3] offset:24 glc
	s_mov_b64 s[4:5], 0
	s_waitcnt vmcnt(0)
	v_cmp_ne_u64_e32 vcc, v[6:7], v[11:12]
	s_and_b64 exec, exec, vcc
	s_cbranch_execz .LBB11_414
.LBB11_413:                             ; =>This Inner Loop Header: Depth=1
	s_sleep 1
	global_store_dwordx2 v[0:1], v[6:7], off
	v_mov_b32_e32 v4, s0
	v_mov_b32_e32 v5, s1
	s_waitcnt vmcnt(0)
	global_atomic_cmpswap_x2 v[4:5], v8, v[4:7], s[2:3] offset:24 glc
	s_waitcnt vmcnt(0)
	v_cmp_eq_u64_e32 vcc, v[4:5], v[6:7]
	v_mov_b32_e32 v7, v5
	s_or_b64 s[4:5], vcc, s[4:5]
	v_mov_b32_e32 v6, v4
	s_andn2_b64 exec, exec, s[4:5]
	s_cbranch_execnz .LBB11_413
.LBB11_414:
	s_or_b64 exec, exec, s[6:7]
.LBB11_415:
	v_readfirstlane_b32 s0, v32
	s_waitcnt vmcnt(0)
	v_mov_b32_e32 v0, 0
	v_mov_b32_e32 v1, 0
	v_cmp_eq_u32_e64 s[0:1], s0, v32
	s_and_saveexec_b64 s[4:5], s[0:1]
	s_cbranch_execz .LBB11_421
; %bb.416:
	v_mov_b32_e32 v4, 0
	global_load_dwordx2 v[7:8], v4, s[2:3] offset:24 glc
	s_waitcnt vmcnt(0)
	buffer_wbinvl1_vol
	global_load_dwordx2 v[0:1], v4, s[2:3] offset:40
	global_load_dwordx2 v[5:6], v4, s[2:3]
	s_waitcnt vmcnt(1)
	v_and_b32_e32 v0, v0, v7
	v_and_b32_e32 v1, v1, v8
	v_mul_lo_u32 v1, v1, 24
	v_mul_hi_u32 v9, v0, 24
	v_mul_lo_u32 v0, v0, 24
	v_add_u32_e32 v1, v9, v1
	s_waitcnt vmcnt(0)
	v_add_co_u32_e32 v0, vcc, v5, v0
	v_addc_co_u32_e32 v1, vcc, v6, v1, vcc
	global_load_dwordx2 v[5:6], v[0:1], off glc
	s_waitcnt vmcnt(0)
	global_atomic_cmpswap_x2 v[0:1], v4, v[5:8], s[2:3] offset:24 glc
	s_waitcnt vmcnt(0)
	buffer_wbinvl1_vol
	v_cmp_ne_u64_e32 vcc, v[0:1], v[7:8]
	s_and_saveexec_b64 s[6:7], vcc
	s_cbranch_execz .LBB11_420
; %bb.417:
	s_mov_b64 s[8:9], 0
.LBB11_418:                             ; =>This Inner Loop Header: Depth=1
	s_sleep 1
	global_load_dwordx2 v[5:6], v4, s[2:3] offset:40
	global_load_dwordx2 v[9:10], v4, s[2:3]
	v_mov_b32_e32 v8, v1
	v_mov_b32_e32 v7, v0
	s_waitcnt vmcnt(1)
	v_and_b32_e32 v0, v5, v7
	s_waitcnt vmcnt(0)
	v_mad_u64_u32 v[0:1], s[10:11], v0, 24, v[9:10]
	v_and_b32_e32 v5, v6, v8
	v_mad_u64_u32 v[5:6], s[10:11], v5, 24, v[1:2]
	v_mov_b32_e32 v1, v5
	global_load_dwordx2 v[5:6], v[0:1], off glc
	s_waitcnt vmcnt(0)
	global_atomic_cmpswap_x2 v[0:1], v4, v[5:8], s[2:3] offset:24 glc
	s_waitcnt vmcnt(0)
	buffer_wbinvl1_vol
	v_cmp_eq_u64_e32 vcc, v[0:1], v[7:8]
	s_or_b64 s[8:9], vcc, s[8:9]
	s_andn2_b64 exec, exec, s[8:9]
	s_cbranch_execnz .LBB11_418
; %bb.419:
	s_or_b64 exec, exec, s[8:9]
.LBB11_420:
	s_or_b64 exec, exec, s[6:7]
.LBB11_421:
	s_or_b64 exec, exec, s[4:5]
	v_mov_b32_e32 v5, 0
	global_load_dwordx2 v[10:11], v5, s[2:3] offset:40
	global_load_dwordx4 v[6:9], v5, s[2:3]
	v_readfirstlane_b32 s5, v1
	v_readfirstlane_b32 s4, v0
	s_mov_b64 s[6:7], exec
	s_waitcnt vmcnt(1)
	v_readfirstlane_b32 s8, v10
	v_readfirstlane_b32 s9, v11
	s_and_b64 s[8:9], s[8:9], s[4:5]
	s_mul_i32 s10, s9, 24
	s_mul_hi_u32 s11, s8, 24
	s_mul_i32 s12, s8, 24
	s_add_i32 s10, s11, s10
	v_mov_b32_e32 v0, s10
	s_waitcnt vmcnt(0)
	v_add_co_u32_e32 v10, vcc, s12, v6
	v_addc_co_u32_e32 v11, vcc, v7, v0, vcc
	s_and_saveexec_b64 s[10:11], s[0:1]
	s_cbranch_execz .LBB11_423
; %bb.422:
	v_mov_b32_e32 v13, s7
	v_mov_b32_e32 v12, s6
	v_mov_b32_e32 v14, 2
	v_mov_b32_e32 v15, 1
	global_store_dwordx4 v[10:11], v[12:15], off offset:8
.LBB11_423:
	s_or_b64 exec, exec, s[10:11]
	s_lshl_b64 s[6:7], s[8:9], 12
	v_mov_b32_e32 v0, s7
	v_add_co_u32_e32 v1, vcc, s6, v8
	v_addc_co_u32_e32 v0, vcc, v9, v0, vcc
	s_movk_i32 s6, 0xff1d
	v_and_or_b32 v2, v2, s6, 34
	s_mov_b32 s8, 0
	v_mov_b32_e32 v4, 0x7c
	v_readfirstlane_b32 s6, v1
	v_readfirstlane_b32 s7, v0
	s_mov_b32 s9, s8
	s_mov_b32 s10, s8
	;; [unrolled: 1-line block ×3, first 2 shown]
	s_nop 1
	global_store_dwordx4 v31, v[2:5], s[6:7]
	v_mov_b32_e32 v0, s8
	v_mov_b32_e32 v1, s9
	;; [unrolled: 1-line block ×4, first 2 shown]
	global_store_dwordx4 v31, v[0:3], s[6:7] offset:16
	global_store_dwordx4 v31, v[0:3], s[6:7] offset:32
	;; [unrolled: 1-line block ×3, first 2 shown]
	s_and_saveexec_b64 s[6:7], s[0:1]
	s_cbranch_execz .LBB11_431
; %bb.424:
	v_mov_b32_e32 v8, 0
	global_load_dwordx2 v[14:15], v8, s[2:3] offset:32 glc
	global_load_dwordx2 v[0:1], v8, s[2:3] offset:40
	v_mov_b32_e32 v12, s4
	v_mov_b32_e32 v13, s5
	s_waitcnt vmcnt(0)
	v_readfirstlane_b32 s8, v0
	v_readfirstlane_b32 s9, v1
	s_and_b64 s[8:9], s[8:9], s[4:5]
	s_mul_i32 s9, s9, 24
	s_mul_hi_u32 s10, s8, 24
	s_mul_i32 s8, s8, 24
	s_add_i32 s9, s10, s9
	v_mov_b32_e32 v0, s9
	v_add_co_u32_e32 v4, vcc, s8, v6
	v_addc_co_u32_e32 v5, vcc, v7, v0, vcc
	global_store_dwordx2 v[4:5], v[14:15], off
	s_waitcnt vmcnt(0)
	global_atomic_cmpswap_x2 v[2:3], v8, v[12:15], s[2:3] offset:32 glc
	s_waitcnt vmcnt(0)
	v_cmp_ne_u64_e32 vcc, v[2:3], v[14:15]
	s_and_saveexec_b64 s[8:9], vcc
	s_cbranch_execz .LBB11_427
; %bb.425:
	s_mov_b64 s[10:11], 0
.LBB11_426:                             ; =>This Inner Loop Header: Depth=1
	s_sleep 1
	global_store_dwordx2 v[4:5], v[2:3], off
	v_mov_b32_e32 v0, s4
	v_mov_b32_e32 v1, s5
	s_waitcnt vmcnt(0)
	global_atomic_cmpswap_x2 v[0:1], v8, v[0:3], s[2:3] offset:32 glc
	s_waitcnt vmcnt(0)
	v_cmp_eq_u64_e32 vcc, v[0:1], v[2:3]
	v_mov_b32_e32 v3, v1
	s_or_b64 s[10:11], vcc, s[10:11]
	v_mov_b32_e32 v2, v0
	s_andn2_b64 exec, exec, s[10:11]
	s_cbranch_execnz .LBB11_426
.LBB11_427:
	s_or_b64 exec, exec, s[8:9]
	v_mov_b32_e32 v3, 0
	global_load_dwordx2 v[0:1], v3, s[2:3] offset:16
	s_mov_b64 s[8:9], exec
	v_mbcnt_lo_u32_b32 v2, s8, 0
	v_mbcnt_hi_u32_b32 v2, s9, v2
	v_cmp_eq_u32_e32 vcc, 0, v2
	s_and_saveexec_b64 s[10:11], vcc
	s_cbranch_execz .LBB11_429
; %bb.428:
	s_bcnt1_i32_b64 s8, s[8:9]
	v_mov_b32_e32 v2, s8
	s_waitcnt vmcnt(0)
	global_atomic_add_x2 v[0:1], v[2:3], off offset:8
.LBB11_429:
	s_or_b64 exec, exec, s[10:11]
	s_waitcnt vmcnt(0)
	global_load_dwordx2 v[2:3], v[0:1], off offset:16
	s_waitcnt vmcnt(0)
	v_cmp_eq_u64_e32 vcc, 0, v[2:3]
	s_cbranch_vccnz .LBB11_431
; %bb.430:
	global_load_dword v0, v[0:1], off offset:24
	v_mov_b32_e32 v1, 0
	s_waitcnt vmcnt(0)
	v_readfirstlane_b32 s8, v0
	s_and_b32 m0, s8, 0xffffff
	global_store_dwordx2 v[2:3], v[0:1], off
	s_sendmsg sendmsg(MSG_INTERRUPT)
.LBB11_431:
	s_or_b64 exec, exec, s[6:7]
	s_branch .LBB11_435
.LBB11_432:                             ;   in Loop: Header=BB11_435 Depth=1
	s_or_b64 exec, exec, s[6:7]
	v_readfirstlane_b32 s6, v0
	s_cmp_eq_u32 s6, 0
	s_cbranch_scc1 .LBB11_434
; %bb.433:                              ;   in Loop: Header=BB11_435 Depth=1
	s_sleep 1
	s_cbranch_execnz .LBB11_435
	s_branch .LBB11_437
.LBB11_434:
	s_branch .LBB11_437
.LBB11_435:                             ; =>This Inner Loop Header: Depth=1
	v_mov_b32_e32 v0, 1
	s_and_saveexec_b64 s[6:7], s[0:1]
	s_cbranch_execz .LBB11_432
; %bb.436:                              ;   in Loop: Header=BB11_435 Depth=1
	global_load_dword v0, v[10:11], off offset:20 glc
	s_waitcnt vmcnt(0)
	buffer_wbinvl1_vol
	v_and_b32_e32 v0, 1, v0
	s_branch .LBB11_432
.LBB11_437:
	s_and_saveexec_b64 s[6:7], s[0:1]
	s_cbranch_execz .LBB11_440
; %bb.438:
	v_mov_b32_e32 v6, 0
	global_load_dwordx2 v[0:1], v6, s[2:3] offset:40
	global_load_dwordx2 v[9:10], v6, s[2:3] offset:24 glc
	global_load_dwordx2 v[2:3], v6, s[2:3]
	s_waitcnt vmcnt(2)
	v_readfirstlane_b32 s8, v0
	v_readfirstlane_b32 s9, v1
	s_add_u32 s10, s8, 1
	s_addc_u32 s11, s9, 0
	s_add_u32 s0, s10, s4
	s_addc_u32 s1, s11, s5
	s_cmp_eq_u64 s[0:1], 0
	s_cselect_b32 s1, s11, s1
	s_cselect_b32 s0, s10, s0
	s_and_b64 s[4:5], s[0:1], s[8:9]
	s_mul_i32 s5, s5, 24
	s_mul_hi_u32 s8, s4, 24
	s_mul_i32 s4, s4, 24
	s_add_i32 s5, s8, s5
	v_mov_b32_e32 v0, s5
	s_waitcnt vmcnt(0)
	v_add_co_u32_e32 v4, vcc, s4, v2
	v_addc_co_u32_e32 v5, vcc, v3, v0, vcc
	v_mov_b32_e32 v7, s0
	global_store_dwordx2 v[4:5], v[9:10], off
	v_mov_b32_e32 v8, s1
	s_waitcnt vmcnt(0)
	global_atomic_cmpswap_x2 v[2:3], v6, v[7:10], s[2:3] offset:24 glc
	s_mov_b64 s[4:5], 0
	s_waitcnt vmcnt(0)
	v_cmp_ne_u64_e32 vcc, v[2:3], v[9:10]
	s_and_b64 exec, exec, vcc
	s_cbranch_execz .LBB11_440
.LBB11_439:                             ; =>This Inner Loop Header: Depth=1
	s_sleep 1
	global_store_dwordx2 v[4:5], v[2:3], off
	v_mov_b32_e32 v0, s0
	v_mov_b32_e32 v1, s1
	s_waitcnt vmcnt(0)
	global_atomic_cmpswap_x2 v[0:1], v6, v[0:3], s[2:3] offset:24 glc
	s_waitcnt vmcnt(0)
	v_cmp_eq_u64_e32 vcc, v[0:1], v[2:3]
	v_mov_b32_e32 v3, v1
	s_or_b64 s[4:5], vcc, s[4:5]
	v_mov_b32_e32 v2, v0
	s_andn2_b64 exec, exec, s[4:5]
	s_cbranch_execnz .LBB11_439
.LBB11_440:
	s_or_b64 exec, exec, s[6:7]
	s_trap 2
	; divergent unreachable
	s_endpgm
	.section	.rodata,"a",@progbits
	.p2align	6, 0x0
	.amdhsa_kernel _ZN9rocsparseL38csr2csr_compress_use_warp_start_deviceILj256ELj32ELj2E21rocsparse_complex_numIfEEEvi21rocsparse_index_base_PKT2_PKiS3_PS4_PiPKjS4_
		.amdhsa_group_segment_fixed_size 0
		.amdhsa_private_segment_fixed_size 0
		.amdhsa_kernarg_size 320
		.amdhsa_user_sgpr_count 6
		.amdhsa_user_sgpr_private_segment_buffer 1
		.amdhsa_user_sgpr_dispatch_ptr 0
		.amdhsa_user_sgpr_queue_ptr 0
		.amdhsa_user_sgpr_kernarg_segment_ptr 1
		.amdhsa_user_sgpr_dispatch_id 0
		.amdhsa_user_sgpr_flat_scratch_init 0
		.amdhsa_user_sgpr_private_segment_size 0
		.amdhsa_uses_dynamic_stack 0
		.amdhsa_system_sgpr_private_segment_wavefront_offset 0
		.amdhsa_system_sgpr_workgroup_id_x 1
		.amdhsa_system_sgpr_workgroup_id_y 0
		.amdhsa_system_sgpr_workgroup_id_z 0
		.amdhsa_system_sgpr_workgroup_info 0
		.amdhsa_system_vgpr_workitem_id 0
		.amdhsa_next_free_vgpr 34
		.amdhsa_next_free_sgpr 26
		.amdhsa_reserve_vcc 1
		.amdhsa_reserve_flat_scratch 0
		.amdhsa_float_round_mode_32 0
		.amdhsa_float_round_mode_16_64 0
		.amdhsa_float_denorm_mode_32 3
		.amdhsa_float_denorm_mode_16_64 3
		.amdhsa_dx10_clamp 1
		.amdhsa_ieee_mode 1
		.amdhsa_fp16_overflow 0
		.amdhsa_exception_fp_ieee_invalid_op 0
		.amdhsa_exception_fp_denorm_src 0
		.amdhsa_exception_fp_ieee_div_zero 0
		.amdhsa_exception_fp_ieee_overflow 0
		.amdhsa_exception_fp_ieee_underflow 0
		.amdhsa_exception_fp_ieee_inexact 0
		.amdhsa_exception_int_div_zero 0
	.end_amdhsa_kernel
	.section	.text._ZN9rocsparseL38csr2csr_compress_use_warp_start_deviceILj256ELj32ELj2E21rocsparse_complex_numIfEEEvi21rocsparse_index_base_PKT2_PKiS3_PS4_PiPKjS4_,"axG",@progbits,_ZN9rocsparseL38csr2csr_compress_use_warp_start_deviceILj256ELj32ELj2E21rocsparse_complex_numIfEEEvi21rocsparse_index_base_PKT2_PKiS3_PS4_PiPKjS4_,comdat
.Lfunc_end11:
	.size	_ZN9rocsparseL38csr2csr_compress_use_warp_start_deviceILj256ELj32ELj2E21rocsparse_complex_numIfEEEvi21rocsparse_index_base_PKT2_PKiS3_PS4_PiPKjS4_, .Lfunc_end11-_ZN9rocsparseL38csr2csr_compress_use_warp_start_deviceILj256ELj32ELj2E21rocsparse_complex_numIfEEEvi21rocsparse_index_base_PKT2_PKiS3_PS4_PiPKjS4_
                                        ; -- End function
	.set _ZN9rocsparseL38csr2csr_compress_use_warp_start_deviceILj256ELj32ELj2E21rocsparse_complex_numIfEEEvi21rocsparse_index_base_PKT2_PKiS3_PS4_PiPKjS4_.num_vgpr, 34
	.set _ZN9rocsparseL38csr2csr_compress_use_warp_start_deviceILj256ELj32ELj2E21rocsparse_complex_numIfEEEvi21rocsparse_index_base_PKT2_PKiS3_PS4_PiPKjS4_.num_agpr, 0
	.set _ZN9rocsparseL38csr2csr_compress_use_warp_start_deviceILj256ELj32ELj2E21rocsparse_complex_numIfEEEvi21rocsparse_index_base_PKT2_PKiS3_PS4_PiPKjS4_.numbered_sgpr, 26
	.set _ZN9rocsparseL38csr2csr_compress_use_warp_start_deviceILj256ELj32ELj2E21rocsparse_complex_numIfEEEvi21rocsparse_index_base_PKT2_PKiS3_PS4_PiPKjS4_.num_named_barrier, 0
	.set _ZN9rocsparseL38csr2csr_compress_use_warp_start_deviceILj256ELj32ELj2E21rocsparse_complex_numIfEEEvi21rocsparse_index_base_PKT2_PKiS3_PS4_PiPKjS4_.private_seg_size, 0
	.set _ZN9rocsparseL38csr2csr_compress_use_warp_start_deviceILj256ELj32ELj2E21rocsparse_complex_numIfEEEvi21rocsparse_index_base_PKT2_PKiS3_PS4_PiPKjS4_.uses_vcc, 1
	.set _ZN9rocsparseL38csr2csr_compress_use_warp_start_deviceILj256ELj32ELj2E21rocsparse_complex_numIfEEEvi21rocsparse_index_base_PKT2_PKiS3_PS4_PiPKjS4_.uses_flat_scratch, 0
	.set _ZN9rocsparseL38csr2csr_compress_use_warp_start_deviceILj256ELj32ELj2E21rocsparse_complex_numIfEEEvi21rocsparse_index_base_PKT2_PKiS3_PS4_PiPKjS4_.has_dyn_sized_stack, 0
	.set _ZN9rocsparseL38csr2csr_compress_use_warp_start_deviceILj256ELj32ELj2E21rocsparse_complex_numIfEEEvi21rocsparse_index_base_PKT2_PKiS3_PS4_PiPKjS4_.has_recursion, 0
	.set _ZN9rocsparseL38csr2csr_compress_use_warp_start_deviceILj256ELj32ELj2E21rocsparse_complex_numIfEEEvi21rocsparse_index_base_PKT2_PKiS3_PS4_PiPKjS4_.has_indirect_call, 0
	.section	.AMDGPU.csdata,"",@progbits
; Kernel info:
; codeLenInByte = 15444
; TotalNumSgprs: 30
; NumVgprs: 34
; ScratchSize: 0
; MemoryBound: 0
; FloatMode: 240
; IeeeMode: 1
; LDSByteSize: 0 bytes/workgroup (compile time only)
; SGPRBlocks: 3
; VGPRBlocks: 8
; NumSGPRsForWavesPerEU: 30
; NumVGPRsForWavesPerEU: 34
; Occupancy: 7
; WaveLimiterHint : 1
; COMPUTE_PGM_RSRC2:SCRATCH_EN: 0
; COMPUTE_PGM_RSRC2:USER_SGPR: 6
; COMPUTE_PGM_RSRC2:TRAP_HANDLER: 0
; COMPUTE_PGM_RSRC2:TGID_X_EN: 1
; COMPUTE_PGM_RSRC2:TGID_Y_EN: 0
; COMPUTE_PGM_RSRC2:TGID_Z_EN: 0
; COMPUTE_PGM_RSRC2:TIDIG_COMP_CNT: 0
	.section	.text._ZN9rocsparseL38csr2csr_compress_use_warp_start_deviceILj256ELj64ELj2E21rocsparse_complex_numIfEEEvi21rocsparse_index_base_PKT2_PKiS3_PS4_PiPKjS4_,"axG",@progbits,_ZN9rocsparseL38csr2csr_compress_use_warp_start_deviceILj256ELj64ELj2E21rocsparse_complex_numIfEEEvi21rocsparse_index_base_PKT2_PKiS3_PS4_PiPKjS4_,comdat
	.globl	_ZN9rocsparseL38csr2csr_compress_use_warp_start_deviceILj256ELj64ELj2E21rocsparse_complex_numIfEEEvi21rocsparse_index_base_PKT2_PKiS3_PS4_PiPKjS4_ ; -- Begin function _ZN9rocsparseL38csr2csr_compress_use_warp_start_deviceILj256ELj64ELj2E21rocsparse_complex_numIfEEEvi21rocsparse_index_base_PKT2_PKiS3_PS4_PiPKjS4_
	.p2align	8
	.type	_ZN9rocsparseL38csr2csr_compress_use_warp_start_deviceILj256ELj64ELj2E21rocsparse_complex_numIfEEEvi21rocsparse_index_base_PKT2_PKiS3_PS4_PiPKjS4_,@function
_ZN9rocsparseL38csr2csr_compress_use_warp_start_deviceILj256ELj64ELj2E21rocsparse_complex_numIfEEEvi21rocsparse_index_base_PKT2_PKiS3_PS4_PiPKjS4_: ; @_ZN9rocsparseL38csr2csr_compress_use_warp_start_deviceILj256ELj64ELj2E21rocsparse_complex_numIfEEEvi21rocsparse_index_base_PKT2_PKiS3_PS4_PiPKjS4_
; %bb.0:
	s_load_dwordx4 s[12:15], s[4:5], 0x0
	s_load_dwordx2 s[16:17], s[4:5], 0x10
	s_load_dword s2, s[4:5], 0x18
	s_load_dwordx4 s[8:11], s[4:5], 0x20
	s_load_dwordx2 s[18:19], s[4:5], 0x30
	s_load_dword s25, s[4:5], 0x38
	v_not_b32_e32 v2, v0
	v_lshl_or_b32 v1, s6, 9, v0
	v_lshrrev_b32_e32 v0, 6, v0
	v_lshrrev_b64 v[5:6], v2, -1
	s_mov_b64 s[0:1], -1
	v_lshl_or_b32 v3, s6, 3, v0
	s_waitcnt lgkmcnt(0)
	s_sub_i32 s24, s2, s13
	v_cmp_gt_i32_e32 vcc, s12, v1
	s_mov_b64 s[6:7], 0
	s_and_saveexec_b64 s[20:21], vcc
	s_cbranch_execnz .LBB12_4
; %bb.1:
	s_or_b64 exec, exec, s[20:21]
	s_and_saveexec_b64 s[20:21], s[0:1]
	s_cbranch_execnz .LBB12_23
.LBB12_2:
	s_or_b64 exec, exec, s[20:21]
	s_and_saveexec_b64 s[0:1], s[6:7]
	s_xor_b64 s[0:1], exec, s[0:1]
	s_cbranch_execnz .LBB12_44
.LBB12_3:
	s_endpgm
.LBB12_4:
	v_ashrrev_i32_e32 v2, 31, v1
	v_lshlrev_b64 v[7:8], 3, v[1:2]
	v_mov_b32_e32 v0, s15
	v_add_co_u32_e32 v7, vcc, s14, v7
	v_addc_co_u32_e32 v8, vcc, v0, v8, vcc
	global_load_dwordx2 v[7:8], v[7:8], off glc slc
                                        ; implicit-def: $vgpr9
	s_waitcnt vmcnt(0)
	v_cmp_gt_f32_e32 vcc, 0, v7
	v_cndmask_b32_e64 v0, v7, -v7, vcc
	v_cmp_gt_f32_e32 vcc, 0, v8
	v_cndmask_b32_e64 v4, v8, -v8, vcc
	v_cmp_ngt_f32_e64 s[0:1], v0, v4
	s_and_saveexec_b64 s[2:3], s[0:1]
	s_xor_b64 s[6:7], exec, s[2:3]
	s_cbranch_execz .LBB12_8
; %bb.5:
	v_mov_b32_e32 v9, 0
	v_cmp_neq_f32_e32 vcc, 0, v8
	s_and_saveexec_b64 s[22:23], vcc
	s_cbranch_execz .LBB12_7
; %bb.6:
	v_div_scale_f32 v9, s[2:3], v4, v4, v0
	v_div_scale_f32 v10, vcc, v0, v4, v0
	s_mov_b32 s2, 0xf800000
	v_rcp_f32_e32 v11, v9
	v_fma_f32 v12, -v9, v11, 1.0
	v_fmac_f32_e32 v11, v12, v11
	v_mul_f32_e32 v12, v10, v11
	v_fma_f32 v13, -v9, v12, v10
	v_fmac_f32_e32 v12, v13, v11
	v_fma_f32 v9, -v9, v12, v10
	v_div_fmas_f32 v9, v9, v11, v12
	v_mov_b32_e32 v11, 0x260
	v_div_fixup_f32 v9, v9, v4, v0
	v_fma_f32 v9, v9, v9, 1.0
	v_mul_f32_e32 v10, 0x4f800000, v9
	v_cmp_gt_f32_e32 vcc, s2, v9
	v_cndmask_b32_e32 v9, v9, v10, vcc
	v_sqrt_f32_e32 v10, v9
	v_add_u32_e32 v12, -1, v10
	v_add_u32_e32 v13, 1, v10
	v_fma_f32 v14, -v12, v10, v9
	v_fma_f32 v15, -v13, v10, v9
	v_cmp_ge_f32_e64 s[2:3], 0, v14
	v_cndmask_b32_e64 v10, v10, v12, s[2:3]
	v_cmp_lt_f32_e64 s[2:3], 0, v15
	v_cndmask_b32_e64 v10, v10, v13, s[2:3]
	v_mul_f32_e32 v12, 0x37800000, v10
	v_cndmask_b32_e32 v10, v10, v12, vcc
	v_cmp_class_f32_e32 vcc, v9, v11
	v_cndmask_b32_e32 v9, v10, v9, vcc
	v_mul_f32_e32 v9, v4, v9
.LBB12_7:
	s_or_b64 exec, exec, s[22:23]
.LBB12_8:
	s_andn2_saveexec_b64 s[6:7], s[6:7]
	s_cbranch_execz .LBB12_10
; %bb.9:
	v_div_scale_f32 v9, s[2:3], v0, v0, v4
	v_div_scale_f32 v10, vcc, v4, v0, v4
	s_mov_b32 s2, 0xf800000
	v_rcp_f32_e32 v11, v9
	v_fma_f32 v12, -v9, v11, 1.0
	v_fmac_f32_e32 v11, v12, v11
	v_mul_f32_e32 v12, v10, v11
	v_fma_f32 v13, -v9, v12, v10
	v_fmac_f32_e32 v12, v13, v11
	v_fma_f32 v9, -v9, v12, v10
	v_div_fmas_f32 v9, v9, v11, v12
	v_mov_b32_e32 v11, 0x260
	v_div_fixup_f32 v9, v9, v0, v4
	v_fma_f32 v9, v9, v9, 1.0
	v_mul_f32_e32 v10, 0x4f800000, v9
	v_cmp_gt_f32_e32 vcc, s2, v9
	v_cndmask_b32_e32 v9, v9, v10, vcc
	v_sqrt_f32_e32 v10, v9
	v_add_u32_e32 v12, -1, v10
	v_add_u32_e32 v13, 1, v10
	v_fma_f32 v14, -v12, v10, v9
	v_fma_f32 v15, -v13, v10, v9
	v_cmp_ge_f32_e64 s[2:3], 0, v14
	v_cndmask_b32_e64 v10, v10, v12, s[2:3]
	v_cmp_lt_f32_e64 s[2:3], 0, v15
	v_cndmask_b32_e64 v10, v10, v13, s[2:3]
	v_mul_f32_e32 v12, 0x37800000, v10
	v_cndmask_b32_e32 v10, v10, v12, vcc
	v_cmp_class_f32_e32 vcc, v9, v11
	v_cndmask_b32_e32 v9, v10, v9, vcc
	v_mul_f32_e32 v9, v0, v9
.LBB12_10:
	s_or_b64 exec, exec, s[6:7]
	v_cmp_lt_f32_e32 vcc, s25, v9
	s_mov_b64 s[6:7], 0
	s_and_saveexec_b64 s[2:3], vcc
	s_cbranch_execz .LBB12_18
; %bb.11:
                                        ; implicit-def: $vgpr9
	s_and_saveexec_b64 s[6:7], s[0:1]
	s_xor_b64 s[6:7], exec, s[6:7]
	s_cbranch_execz .LBB12_15
; %bb.12:
	v_mov_b32_e32 v9, 0
	v_cmp_neq_f32_e32 vcc, 0, v8
	s_and_saveexec_b64 s[22:23], vcc
	s_cbranch_execz .LBB12_14
; %bb.13:
	v_div_scale_f32 v9, s[0:1], v4, v4, v0
	v_div_scale_f32 v10, vcc, v0, v4, v0
	s_mov_b32 s0, 0xf800000
	v_rcp_f32_e32 v11, v9
	v_fma_f32 v12, -v9, v11, 1.0
	v_fmac_f32_e32 v11, v12, v11
	v_mul_f32_e32 v12, v10, v11
	v_fma_f32 v13, -v9, v12, v10
	v_fmac_f32_e32 v12, v13, v11
	v_fma_f32 v9, -v9, v12, v10
	v_div_fmas_f32 v9, v9, v11, v12
	v_mov_b32_e32 v10, 0x260
	v_div_fixup_f32 v0, v9, v4, v0
	v_fma_f32 v0, v0, v0, 1.0
	v_mul_f32_e32 v9, 0x4f800000, v0
	v_cmp_gt_f32_e32 vcc, s0, v0
	v_cndmask_b32_e32 v0, v0, v9, vcc
	v_sqrt_f32_e32 v9, v0
	v_add_u32_e32 v11, -1, v9
	v_add_u32_e32 v12, 1, v9
	v_fma_f32 v13, -v11, v9, v0
	v_fma_f32 v14, -v12, v9, v0
	v_cmp_ge_f32_e64 s[0:1], 0, v13
	v_cndmask_b32_e64 v9, v9, v11, s[0:1]
	v_cmp_lt_f32_e64 s[0:1], 0, v14
	v_cndmask_b32_e64 v9, v9, v12, s[0:1]
	v_mul_f32_e32 v11, 0x37800000, v9
	v_cndmask_b32_e32 v9, v9, v11, vcc
	v_cmp_class_f32_e32 vcc, v0, v10
	v_cndmask_b32_e32 v0, v9, v0, vcc
	v_mul_f32_e32 v9, v4, v0
.LBB12_14:
	s_or_b64 exec, exec, s[22:23]
                                        ; implicit-def: $vgpr0
                                        ; implicit-def: $vgpr4
.LBB12_15:
	s_andn2_saveexec_b64 s[6:7], s[6:7]
	s_cbranch_execz .LBB12_17
; %bb.16:
	v_div_scale_f32 v9, s[0:1], v0, v0, v4
	v_div_scale_f32 v10, vcc, v4, v0, v4
	s_mov_b32 s0, 0xf800000
	v_rcp_f32_e32 v11, v9
	v_fma_f32 v12, -v9, v11, 1.0
	v_fmac_f32_e32 v11, v12, v11
	v_mul_f32_e32 v12, v10, v11
	v_fma_f32 v13, -v9, v12, v10
	v_fmac_f32_e32 v12, v13, v11
	v_fma_f32 v9, -v9, v12, v10
	v_div_fmas_f32 v9, v9, v11, v12
	v_mov_b32_e32 v10, 0x260
	v_div_fixup_f32 v4, v9, v0, v4
	v_fma_f32 v4, v4, v4, 1.0
	v_mul_f32_e32 v9, 0x4f800000, v4
	v_cmp_gt_f32_e32 vcc, s0, v4
	v_cndmask_b32_e32 v4, v4, v9, vcc
	v_sqrt_f32_e32 v9, v4
	v_add_u32_e32 v11, -1, v9
	v_add_u32_e32 v12, 1, v9
	v_fma_f32 v13, -v11, v9, v4
	v_fma_f32 v14, -v12, v9, v4
	v_cmp_ge_f32_e64 s[0:1], 0, v13
	v_cndmask_b32_e64 v9, v9, v11, s[0:1]
	v_cmp_lt_f32_e64 s[0:1], 0, v14
	v_cndmask_b32_e64 v9, v9, v12, s[0:1]
	v_mul_f32_e32 v11, 0x37800000, v9
	v_cndmask_b32_e32 v9, v9, v11, vcc
	v_cmp_class_f32_e32 vcc, v4, v10
	v_cndmask_b32_e32 v4, v9, v4, vcc
	v_mul_f32_e32 v9, v0, v4
.LBB12_17:
	s_or_b64 exec, exec, s[6:7]
	s_mov_b32 s0, 0x800000
	v_cmp_lt_f32_e32 vcc, s0, v9
	s_and_b64 s[6:7], vcc, exec
.LBB12_18:
	s_or_b64 exec, exec, s[2:3]
	v_cndmask_b32_e64 v0, 0, 1, s[6:7]
	v_cmp_ne_u32_e32 vcc, 0, v0
	s_mov_b64 s[2:3], -1
	s_mov_b64 s[22:23], 0
	s_and_saveexec_b64 s[0:1], s[6:7]
	s_cbranch_execz .LBB12_22
; %bb.19:
	v_and_b32_e32 v10, vcc_hi, v6
	v_and_b32_e32 v9, vcc_lo, v5
	v_cmp_ne_u64_e32 vcc, 0, v[9:10]
	s_mov_b64 s[2:3], 0
	s_mov_b64 s[22:23], -1
	s_and_saveexec_b64 s[6:7], vcc
	s_cbranch_execz .LBB12_21
; %bb.20:
	v_mov_b32_e32 v4, 0
	v_lshlrev_b64 v[11:12], 2, v[3:4]
	v_mov_b32_e32 v0, s19
	v_add_co_u32_e32 v11, vcc, s18, v11
	v_lshlrev_b64 v[13:14], 2, v[1:2]
	v_addc_co_u32_e32 v12, vcc, v0, v12, vcc
	v_mov_b32_e32 v0, s17
	v_add_co_u32_e32 v13, vcc, s16, v13
	v_addc_co_u32_e32 v14, vcc, v0, v14, vcc
	global_load_dword v0, v[13:14], off
	global_load_dword v2, v[11:12], off
	v_bcnt_u32_b32 v9, v9, 0
	v_bcnt_u32_b32 v9, v10, v9
	v_mov_b32_e32 v10, v4
	v_mov_b32_e32 v13, s9
	s_mov_b64 s[2:3], exec
	v_mov_b32_e32 v14, s11
	s_xor_b64 s[22:23], exec, -1
	s_waitcnt vmcnt(1)
	v_add_u32_e32 v0, s24, v0
	s_waitcnt vmcnt(0)
	v_add3_u32 v9, v9, v2, -1
	v_lshlrev_b64 v[11:12], 3, v[9:10]
	v_lshlrev_b64 v[9:10], 2, v[9:10]
	v_add_co_u32_e32 v11, vcc, s8, v11
	v_addc_co_u32_e32 v12, vcc, v13, v12, vcc
	v_add_co_u32_e32 v9, vcc, s10, v9
	v_addc_co_u32_e32 v10, vcc, v14, v10, vcc
	global_store_dwordx2 v[11:12], v[7:8], off
	global_store_dword v[9:10], v0, off
.LBB12_21:
	s_or_b64 exec, exec, s[6:7]
	s_and_b64 s[22:23], s[22:23], exec
	s_orn2_b64 s[2:3], s[2:3], exec
.LBB12_22:
	s_or_b64 exec, exec, s[0:1]
	s_and_b64 s[6:7], s[22:23], exec
	s_orn2_b64 s[0:1], s[2:3], exec
	s_or_b64 exec, exec, s[20:21]
	s_and_saveexec_b64 s[20:21], s[0:1]
	s_cbranch_execz .LBB12_2
.LBB12_23:
	v_add_u32_e32 v0, 0x100, v1
	v_cmp_gt_i32_e32 vcc, s12, v0
	s_mov_b64 s[0:1], s[6:7]
	s_and_saveexec_b64 s[12:13], vcc
	s_cbranch_execz .LBB12_43
; %bb.24:
	v_ashrrev_i32_e32 v2, 31, v1
	v_lshlrev_b64 v[7:8], 3, v[1:2]
	v_mov_b32_e32 v0, s15
	v_add_co_u32_e32 v7, vcc, s14, v7
	v_addc_co_u32_e32 v8, vcc, v0, v8, vcc
	global_load_dwordx2 v[7:8], v[7:8], off offset:2048 glc slc
                                        ; implicit-def: $vgpr9
	s_waitcnt vmcnt(0)
	v_cmp_gt_f32_e32 vcc, 0, v7
	v_cndmask_b32_e64 v0, v7, -v7, vcc
	v_cmp_gt_f32_e32 vcc, 0, v8
	v_cndmask_b32_e64 v4, v8, -v8, vcc
	v_cmp_ngt_f32_e64 s[0:1], v0, v4
	s_and_saveexec_b64 s[2:3], s[0:1]
	s_xor_b64 s[14:15], exec, s[2:3]
	s_cbranch_execz .LBB12_28
; %bb.25:
	v_mov_b32_e32 v9, 0
	v_cmp_neq_f32_e32 vcc, 0, v8
	s_and_saveexec_b64 s[22:23], vcc
	s_cbranch_execz .LBB12_27
; %bb.26:
	v_div_scale_f32 v9, s[2:3], v4, v4, v0
	v_div_scale_f32 v10, vcc, v0, v4, v0
	s_mov_b32 s2, 0xf800000
	v_rcp_f32_e32 v11, v9
	v_fma_f32 v12, -v9, v11, 1.0
	v_fmac_f32_e32 v11, v12, v11
	v_mul_f32_e32 v12, v10, v11
	v_fma_f32 v13, -v9, v12, v10
	v_fmac_f32_e32 v12, v13, v11
	v_fma_f32 v9, -v9, v12, v10
	v_div_fmas_f32 v9, v9, v11, v12
	v_mov_b32_e32 v11, 0x260
	v_div_fixup_f32 v9, v9, v4, v0
	v_fma_f32 v9, v9, v9, 1.0
	v_mul_f32_e32 v10, 0x4f800000, v9
	v_cmp_gt_f32_e32 vcc, s2, v9
	v_cndmask_b32_e32 v9, v9, v10, vcc
	v_sqrt_f32_e32 v10, v9
	v_add_u32_e32 v12, -1, v10
	v_add_u32_e32 v13, 1, v10
	v_fma_f32 v14, -v12, v10, v9
	v_fma_f32 v15, -v13, v10, v9
	v_cmp_ge_f32_e64 s[2:3], 0, v14
	v_cndmask_b32_e64 v10, v10, v12, s[2:3]
	v_cmp_lt_f32_e64 s[2:3], 0, v15
	v_cndmask_b32_e64 v10, v10, v13, s[2:3]
	v_mul_f32_e32 v12, 0x37800000, v10
	v_cndmask_b32_e32 v10, v10, v12, vcc
	v_cmp_class_f32_e32 vcc, v9, v11
	v_cndmask_b32_e32 v9, v10, v9, vcc
	v_mul_f32_e32 v9, v4, v9
.LBB12_27:
	s_or_b64 exec, exec, s[22:23]
.LBB12_28:
	s_andn2_saveexec_b64 s[14:15], s[14:15]
	s_cbranch_execz .LBB12_30
; %bb.29:
	v_div_scale_f32 v9, s[2:3], v0, v0, v4
	v_div_scale_f32 v10, vcc, v4, v0, v4
	s_mov_b32 s2, 0xf800000
	v_rcp_f32_e32 v11, v9
	v_fma_f32 v12, -v9, v11, 1.0
	v_fmac_f32_e32 v11, v12, v11
	v_mul_f32_e32 v12, v10, v11
	v_fma_f32 v13, -v9, v12, v10
	v_fmac_f32_e32 v12, v13, v11
	v_fma_f32 v9, -v9, v12, v10
	v_div_fmas_f32 v9, v9, v11, v12
	v_mov_b32_e32 v11, 0x260
	v_div_fixup_f32 v9, v9, v0, v4
	v_fma_f32 v9, v9, v9, 1.0
	v_mul_f32_e32 v10, 0x4f800000, v9
	v_cmp_gt_f32_e32 vcc, s2, v9
	v_cndmask_b32_e32 v9, v9, v10, vcc
	v_sqrt_f32_e32 v10, v9
	v_add_u32_e32 v12, -1, v10
	v_add_u32_e32 v13, 1, v10
	v_fma_f32 v14, -v12, v10, v9
	v_fma_f32 v15, -v13, v10, v9
	v_cmp_ge_f32_e64 s[2:3], 0, v14
	v_cndmask_b32_e64 v10, v10, v12, s[2:3]
	v_cmp_lt_f32_e64 s[2:3], 0, v15
	v_cndmask_b32_e64 v10, v10, v13, s[2:3]
	v_mul_f32_e32 v12, 0x37800000, v10
	v_cndmask_b32_e32 v10, v10, v12, vcc
	v_cmp_class_f32_e32 vcc, v9, v11
	v_cndmask_b32_e32 v9, v10, v9, vcc
	v_mul_f32_e32 v9, v0, v9
.LBB12_30:
	s_or_b64 exec, exec, s[14:15]
	v_cmp_lt_f32_e32 vcc, s25, v9
	s_mov_b64 s[14:15], 0
	s_and_saveexec_b64 s[2:3], vcc
	s_cbranch_execz .LBB12_38
; %bb.31:
                                        ; implicit-def: $vgpr9
	s_and_saveexec_b64 s[14:15], s[0:1]
	s_xor_b64 s[14:15], exec, s[14:15]
	s_cbranch_execz .LBB12_35
; %bb.32:
	v_mov_b32_e32 v9, 0
	v_cmp_neq_f32_e32 vcc, 0, v8
	s_and_saveexec_b64 s[22:23], vcc
	s_cbranch_execz .LBB12_34
; %bb.33:
	v_div_scale_f32 v9, s[0:1], v4, v4, v0
	v_div_scale_f32 v10, vcc, v0, v4, v0
	s_mov_b32 s0, 0xf800000
	v_rcp_f32_e32 v11, v9
	v_fma_f32 v12, -v9, v11, 1.0
	v_fmac_f32_e32 v11, v12, v11
	v_mul_f32_e32 v12, v10, v11
	v_fma_f32 v13, -v9, v12, v10
	v_fmac_f32_e32 v12, v13, v11
	v_fma_f32 v9, -v9, v12, v10
	v_div_fmas_f32 v9, v9, v11, v12
	v_mov_b32_e32 v10, 0x260
	v_div_fixup_f32 v0, v9, v4, v0
	v_fma_f32 v0, v0, v0, 1.0
	v_mul_f32_e32 v9, 0x4f800000, v0
	v_cmp_gt_f32_e32 vcc, s0, v0
	v_cndmask_b32_e32 v0, v0, v9, vcc
	v_sqrt_f32_e32 v9, v0
	v_add_u32_e32 v11, -1, v9
	v_add_u32_e32 v12, 1, v9
	v_fma_f32 v13, -v11, v9, v0
	v_fma_f32 v14, -v12, v9, v0
	v_cmp_ge_f32_e64 s[0:1], 0, v13
	v_cndmask_b32_e64 v9, v9, v11, s[0:1]
	v_cmp_lt_f32_e64 s[0:1], 0, v14
	v_cndmask_b32_e64 v9, v9, v12, s[0:1]
	v_mul_f32_e32 v11, 0x37800000, v9
	v_cndmask_b32_e32 v9, v9, v11, vcc
	v_cmp_class_f32_e32 vcc, v0, v10
	v_cndmask_b32_e32 v0, v9, v0, vcc
	v_mul_f32_e32 v9, v4, v0
.LBB12_34:
	s_or_b64 exec, exec, s[22:23]
                                        ; implicit-def: $vgpr0
                                        ; implicit-def: $vgpr4
.LBB12_35:
	s_andn2_saveexec_b64 s[14:15], s[14:15]
	s_cbranch_execz .LBB12_37
; %bb.36:
	v_div_scale_f32 v9, s[0:1], v0, v0, v4
	v_div_scale_f32 v10, vcc, v4, v0, v4
	s_mov_b32 s0, 0xf800000
	v_rcp_f32_e32 v11, v9
	v_fma_f32 v12, -v9, v11, 1.0
	v_fmac_f32_e32 v11, v12, v11
	v_mul_f32_e32 v12, v10, v11
	v_fma_f32 v13, -v9, v12, v10
	v_fmac_f32_e32 v12, v13, v11
	v_fma_f32 v9, -v9, v12, v10
	v_div_fmas_f32 v9, v9, v11, v12
	v_mov_b32_e32 v10, 0x260
	v_div_fixup_f32 v4, v9, v0, v4
	v_fma_f32 v4, v4, v4, 1.0
	v_mul_f32_e32 v9, 0x4f800000, v4
	v_cmp_gt_f32_e32 vcc, s0, v4
	v_cndmask_b32_e32 v4, v4, v9, vcc
	v_sqrt_f32_e32 v9, v4
	v_add_u32_e32 v11, -1, v9
	v_add_u32_e32 v12, 1, v9
	v_fma_f32 v13, -v11, v9, v4
	v_fma_f32 v14, -v12, v9, v4
	v_cmp_ge_f32_e64 s[0:1], 0, v13
	v_cndmask_b32_e64 v9, v9, v11, s[0:1]
	v_cmp_lt_f32_e64 s[0:1], 0, v14
	v_cndmask_b32_e64 v9, v9, v12, s[0:1]
	v_mul_f32_e32 v11, 0x37800000, v9
	v_cndmask_b32_e32 v9, v9, v11, vcc
	v_cmp_class_f32_e32 vcc, v4, v10
	v_cndmask_b32_e32 v4, v9, v4, vcc
	v_mul_f32_e32 v9, v0, v4
.LBB12_37:
	s_or_b64 exec, exec, s[14:15]
	s_mov_b32 s0, 0x800000
	v_cmp_lt_f32_e32 vcc, s0, v9
	s_and_b64 s[14:15], vcc, exec
.LBB12_38:
	s_or_b64 exec, exec, s[2:3]
	v_cndmask_b32_e64 v0, 0, 1, s[14:15]
	v_cmp_ne_u32_e32 vcc, 0, v0
	s_mov_b64 s[2:3], s[6:7]
	s_and_saveexec_b64 s[0:1], s[14:15]
	s_cbranch_execz .LBB12_42
; %bb.39:
	v_and_b32_e32 v6, vcc_hi, v6
	v_and_b32_e32 v5, vcc_lo, v5
	v_cmp_ne_u64_e32 vcc, 0, v[5:6]
	s_mov_b64 s[14:15], -1
	s_and_saveexec_b64 s[2:3], vcc
	s_xor_b64 s[2:3], exec, s[2:3]
	s_cbranch_execz .LBB12_41
; %bb.40:
	v_mov_b32_e32 v4, 0
	v_add_u32_e32 v3, 4, v3
	v_lshlrev_b64 v[9:10], 2, v[3:4]
	v_mov_b32_e32 v0, s19
	v_add_co_u32_e32 v9, vcc, s18, v9
	v_addc_co_u32_e32 v10, vcc, v0, v10, vcc
	v_lshlrev_b64 v[0:1], 2, v[1:2]
	v_mov_b32_e32 v2, s17
	v_add_co_u32_e32 v0, vcc, s16, v0
	v_addc_co_u32_e32 v1, vcc, v2, v1, vcc
	global_load_dword v2, v[0:1], off offset:1024
	global_load_dword v3, v[9:10], off
	v_bcnt_u32_b32 v0, v5, 0
	v_bcnt_u32_b32 v0, v6, v0
	v_mov_b32_e32 v5, s9
	v_mov_b32_e32 v9, s11
	s_xor_b64 s[14:15], exec, -1
	s_waitcnt vmcnt(1)
	v_add_u32_e32 v6, s24, v2
	s_waitcnt vmcnt(0)
	v_add3_u32 v3, v0, v3, -1
	v_lshlrev_b64 v[0:1], 3, v[3:4]
	v_lshlrev_b64 v[2:3], 2, v[3:4]
	v_add_co_u32_e32 v0, vcc, s8, v0
	v_addc_co_u32_e32 v1, vcc, v5, v1, vcc
	v_add_co_u32_e32 v2, vcc, s10, v2
	v_addc_co_u32_e32 v3, vcc, v9, v3, vcc
	global_store_dwordx2 v[0:1], v[7:8], off
	global_store_dword v[2:3], v6, off
.LBB12_41:
	s_or_b64 exec, exec, s[2:3]
	s_andn2_b64 s[2:3], s[6:7], exec
	s_and_b64 s[8:9], s[14:15], exec
	s_or_b64 s[2:3], s[2:3], s[8:9]
.LBB12_42:
	s_or_b64 exec, exec, s[0:1]
	s_andn2_b64 s[0:1], s[6:7], exec
	s_and_b64 s[2:3], s[2:3], exec
	s_or_b64 s[0:1], s[0:1], s[2:3]
.LBB12_43:
	s_or_b64 exec, exec, s[12:13]
	s_andn2_b64 s[2:3], s[6:7], exec
	s_and_b64 s[0:1], s[0:1], exec
	s_or_b64 s[6:7], s[2:3], s[0:1]
	s_or_b64 exec, exec, s[20:21]
	s_and_saveexec_b64 s[0:1], s[6:7]
	s_xor_b64 s[0:1], exec, s[0:1]
	s_cbranch_execz .LBB12_3
.LBB12_44:
	s_load_dwordx2 s[2:3], s[4:5], 0x90
	v_mbcnt_lo_u32_b32 v0, -1, 0
	v_mbcnt_hi_u32_b32 v32, -1, v0
	v_readfirstlane_b32 s0, v32
	v_mov_b32_e32 v5, 0
	v_mov_b32_e32 v6, 0
	v_cmp_eq_u32_e64 s[0:1], s0, v32
	s_and_saveexec_b64 s[4:5], s[0:1]
	s_cbranch_execz .LBB12_50
; %bb.45:
	v_mov_b32_e32 v0, 0
	s_waitcnt lgkmcnt(0)
	global_load_dwordx2 v[3:4], v0, s[2:3] offset:24 glc
	s_waitcnt vmcnt(0)
	buffer_wbinvl1_vol
	global_load_dwordx2 v[1:2], v0, s[2:3] offset:40
	global_load_dwordx2 v[5:6], v0, s[2:3]
	s_waitcnt vmcnt(1)
	v_and_b32_e32 v1, v1, v3
	v_and_b32_e32 v2, v2, v4
	v_mul_lo_u32 v2, v2, 24
	v_mul_hi_u32 v7, v1, 24
	v_mul_lo_u32 v1, v1, 24
	v_add_u32_e32 v2, v7, v2
	s_waitcnt vmcnt(0)
	v_add_co_u32_e32 v1, vcc, v5, v1
	v_addc_co_u32_e32 v2, vcc, v6, v2, vcc
	global_load_dwordx2 v[1:2], v[1:2], off glc
	s_waitcnt vmcnt(0)
	global_atomic_cmpswap_x2 v[5:6], v0, v[1:4], s[2:3] offset:24 glc
	s_waitcnt vmcnt(0)
	buffer_wbinvl1_vol
	v_cmp_ne_u64_e32 vcc, v[5:6], v[3:4]
	s_and_saveexec_b64 s[6:7], vcc
	s_cbranch_execz .LBB12_49
; %bb.46:
	s_mov_b64 s[8:9], 0
.LBB12_47:                              ; =>This Inner Loop Header: Depth=1
	s_sleep 1
	global_load_dwordx2 v[1:2], v0, s[2:3] offset:40
	global_load_dwordx2 v[7:8], v0, s[2:3]
	v_mov_b32_e32 v3, v5
	v_mov_b32_e32 v4, v6
	s_waitcnt vmcnt(1)
	v_and_b32_e32 v1, v1, v3
	s_waitcnt vmcnt(0)
	v_mad_u64_u32 v[5:6], s[10:11], v1, 24, v[7:8]
	v_and_b32_e32 v2, v2, v4
	v_mov_b32_e32 v1, v6
	v_mad_u64_u32 v[1:2], s[10:11], v2, 24, v[1:2]
	v_mov_b32_e32 v6, v1
	global_load_dwordx2 v[1:2], v[5:6], off glc
	s_waitcnt vmcnt(0)
	global_atomic_cmpswap_x2 v[5:6], v0, v[1:4], s[2:3] offset:24 glc
	s_waitcnt vmcnt(0)
	buffer_wbinvl1_vol
	v_cmp_eq_u64_e32 vcc, v[5:6], v[3:4]
	s_or_b64 s[8:9], vcc, s[8:9]
	s_andn2_b64 exec, exec, s[8:9]
	s_cbranch_execnz .LBB12_47
; %bb.48:
	s_or_b64 exec, exec, s[8:9]
.LBB12_49:
	s_or_b64 exec, exec, s[6:7]
.LBB12_50:
	s_or_b64 exec, exec, s[4:5]
	v_mov_b32_e32 v4, 0
	s_waitcnt lgkmcnt(0)
	global_load_dwordx2 v[7:8], v4, s[2:3] offset:40
	global_load_dwordx4 v[0:3], v4, s[2:3]
	v_readfirstlane_b32 s5, v6
	v_readfirstlane_b32 s4, v5
	s_mov_b64 s[6:7], exec
	s_waitcnt vmcnt(1)
	v_readfirstlane_b32 s8, v7
	v_readfirstlane_b32 s9, v8
	s_and_b64 s[8:9], s[8:9], s[4:5]
	s_mul_i32 s10, s9, 24
	s_mul_hi_u32 s11, s8, 24
	s_mul_i32 s12, s8, 24
	s_add_i32 s10, s11, s10
	v_mov_b32_e32 v5, s10
	s_waitcnt vmcnt(0)
	v_add_co_u32_e32 v7, vcc, s12, v0
	v_addc_co_u32_e32 v8, vcc, v1, v5, vcc
	s_and_saveexec_b64 s[10:11], s[0:1]
	s_cbranch_execz .LBB12_52
; %bb.51:
	v_mov_b32_e32 v10, s7
	v_mov_b32_e32 v9, s6
	;; [unrolled: 1-line block ×4, first 2 shown]
	global_store_dwordx4 v[7:8], v[9:12], off offset:8
.LBB12_52:
	s_or_b64 exec, exec, s[10:11]
	s_lshl_b64 s[6:7], s[8:9], 12
	v_mov_b32_e32 v5, s7
	v_add_co_u32_e32 v2, vcc, s6, v2
	v_addc_co_u32_e32 v11, vcc, v3, v5, vcc
	v_lshlrev_b32_e32 v31, 6, v32
	s_mov_b32 s8, 0
	v_mov_b32_e32 v3, 33
	v_mov_b32_e32 v5, v4
	;; [unrolled: 1-line block ×3, first 2 shown]
	v_readfirstlane_b32 s6, v2
	v_readfirstlane_b32 s7, v11
	v_add_co_u32_e32 v9, vcc, v2, v31
	s_mov_b32 s9, s8
	s_mov_b32 s10, s8
	;; [unrolled: 1-line block ×3, first 2 shown]
	s_nop 0
	global_store_dwordx4 v31, v[3:6], s[6:7]
	v_mov_b32_e32 v2, s8
	v_addc_co_u32_e32 v10, vcc, 0, v11, vcc
	v_mov_b32_e32 v3, s9
	v_mov_b32_e32 v4, s10
	;; [unrolled: 1-line block ×3, first 2 shown]
	global_store_dwordx4 v31, v[2:5], s[6:7] offset:16
	global_store_dwordx4 v31, v[2:5], s[6:7] offset:32
	;; [unrolled: 1-line block ×3, first 2 shown]
	s_and_saveexec_b64 s[6:7], s[0:1]
	s_cbranch_execz .LBB12_60
; %bb.53:
	v_mov_b32_e32 v6, 0
	global_load_dwordx2 v[13:14], v6, s[2:3] offset:32 glc
	global_load_dwordx2 v[2:3], v6, s[2:3] offset:40
	v_mov_b32_e32 v11, s4
	v_mov_b32_e32 v12, s5
	s_waitcnt vmcnt(0)
	v_and_b32_e32 v2, s4, v2
	v_and_b32_e32 v3, s5, v3
	v_mul_lo_u32 v3, v3, 24
	v_mul_hi_u32 v4, v2, 24
	v_mul_lo_u32 v2, v2, 24
	v_add_u32_e32 v3, v4, v3
	v_add_co_u32_e32 v4, vcc, v0, v2
	v_addc_co_u32_e32 v5, vcc, v1, v3, vcc
	global_store_dwordx2 v[4:5], v[13:14], off
	s_waitcnt vmcnt(0)
	global_atomic_cmpswap_x2 v[2:3], v6, v[11:14], s[2:3] offset:32 glc
	s_waitcnt vmcnt(0)
	v_cmp_ne_u64_e32 vcc, v[2:3], v[13:14]
	s_and_saveexec_b64 s[8:9], vcc
	s_cbranch_execz .LBB12_56
; %bb.54:
	s_mov_b64 s[10:11], 0
.LBB12_55:                              ; =>This Inner Loop Header: Depth=1
	s_sleep 1
	global_store_dwordx2 v[4:5], v[2:3], off
	v_mov_b32_e32 v0, s4
	v_mov_b32_e32 v1, s5
	s_waitcnt vmcnt(0)
	global_atomic_cmpswap_x2 v[0:1], v6, v[0:3], s[2:3] offset:32 glc
	s_waitcnt vmcnt(0)
	v_cmp_eq_u64_e32 vcc, v[0:1], v[2:3]
	v_mov_b32_e32 v3, v1
	s_or_b64 s[10:11], vcc, s[10:11]
	v_mov_b32_e32 v2, v0
	s_andn2_b64 exec, exec, s[10:11]
	s_cbranch_execnz .LBB12_55
.LBB12_56:
	s_or_b64 exec, exec, s[8:9]
	v_mov_b32_e32 v3, 0
	global_load_dwordx2 v[0:1], v3, s[2:3] offset:16
	s_mov_b64 s[8:9], exec
	v_mbcnt_lo_u32_b32 v2, s8, 0
	v_mbcnt_hi_u32_b32 v2, s9, v2
	v_cmp_eq_u32_e32 vcc, 0, v2
	s_and_saveexec_b64 s[10:11], vcc
	s_cbranch_execz .LBB12_58
; %bb.57:
	s_bcnt1_i32_b64 s8, s[8:9]
	v_mov_b32_e32 v2, s8
	s_waitcnt vmcnt(0)
	global_atomic_add_x2 v[0:1], v[2:3], off offset:8
.LBB12_58:
	s_or_b64 exec, exec, s[10:11]
	s_waitcnt vmcnt(0)
	global_load_dwordx2 v[2:3], v[0:1], off offset:16
	s_waitcnt vmcnt(0)
	v_cmp_eq_u64_e32 vcc, 0, v[2:3]
	s_cbranch_vccnz .LBB12_60
; %bb.59:
	global_load_dword v0, v[0:1], off offset:24
	v_mov_b32_e32 v1, 0
	s_waitcnt vmcnt(0)
	v_readfirstlane_b32 s8, v0
	s_and_b32 m0, s8, 0xffffff
	global_store_dwordx2 v[2:3], v[0:1], off
	s_sendmsg sendmsg(MSG_INTERRUPT)
.LBB12_60:
	s_or_b64 exec, exec, s[6:7]
	s_branch .LBB12_64
.LBB12_61:                              ;   in Loop: Header=BB12_64 Depth=1
	s_or_b64 exec, exec, s[6:7]
	v_readfirstlane_b32 s6, v0
	s_cmp_eq_u32 s6, 0
	s_cbranch_scc1 .LBB12_63
; %bb.62:                               ;   in Loop: Header=BB12_64 Depth=1
	s_sleep 1
	s_cbranch_execnz .LBB12_64
	s_branch .LBB12_66
.LBB12_63:
	s_branch .LBB12_66
.LBB12_64:                              ; =>This Inner Loop Header: Depth=1
	v_mov_b32_e32 v0, 1
	s_and_saveexec_b64 s[6:7], s[0:1]
	s_cbranch_execz .LBB12_61
; %bb.65:                               ;   in Loop: Header=BB12_64 Depth=1
	global_load_dword v0, v[7:8], off offset:20 glc
	s_waitcnt vmcnt(0)
	buffer_wbinvl1_vol
	v_and_b32_e32 v0, 1, v0
	s_branch .LBB12_61
.LBB12_66:
	global_load_dwordx2 v[0:1], v[9:10], off
	s_and_saveexec_b64 s[6:7], s[0:1]
	s_cbranch_execz .LBB12_69
; %bb.67:
	v_mov_b32_e32 v8, 0
	global_load_dwordx2 v[2:3], v8, s[2:3] offset:40
	global_load_dwordx2 v[11:12], v8, s[2:3] offset:24 glc
	global_load_dwordx2 v[4:5], v8, s[2:3]
	s_waitcnt vmcnt(2)
	v_readfirstlane_b32 s8, v2
	v_readfirstlane_b32 s9, v3
	s_add_u32 s10, s8, 1
	s_addc_u32 s11, s9, 0
	s_add_u32 s0, s10, s4
	s_addc_u32 s1, s11, s5
	s_cmp_eq_u64 s[0:1], 0
	s_cselect_b32 s1, s11, s1
	s_cselect_b32 s0, s10, s0
	s_and_b64 s[4:5], s[0:1], s[8:9]
	s_mul_i32 s5, s5, 24
	s_mul_hi_u32 s8, s4, 24
	s_mul_i32 s4, s4, 24
	s_add_i32 s5, s8, s5
	v_mov_b32_e32 v2, s5
	s_waitcnt vmcnt(0)
	v_add_co_u32_e32 v6, vcc, s4, v4
	v_addc_co_u32_e32 v7, vcc, v5, v2, vcc
	v_mov_b32_e32 v9, s0
	global_store_dwordx2 v[6:7], v[11:12], off
	v_mov_b32_e32 v10, s1
	s_waitcnt vmcnt(0)
	global_atomic_cmpswap_x2 v[4:5], v8, v[9:12], s[2:3] offset:24 glc
	s_mov_b64 s[4:5], 0
	s_waitcnt vmcnt(0)
	v_cmp_ne_u64_e32 vcc, v[4:5], v[11:12]
	s_and_b64 exec, exec, vcc
	s_cbranch_execz .LBB12_69
.LBB12_68:                              ; =>This Inner Loop Header: Depth=1
	s_sleep 1
	global_store_dwordx2 v[6:7], v[4:5], off
	v_mov_b32_e32 v2, s0
	v_mov_b32_e32 v3, s1
	s_waitcnt vmcnt(0)
	global_atomic_cmpswap_x2 v[2:3], v8, v[2:5], s[2:3] offset:24 glc
	s_waitcnt vmcnt(0)
	v_cmp_eq_u64_e32 vcc, v[2:3], v[4:5]
	v_mov_b32_e32 v5, v3
	s_or_b64 s[4:5], vcc, s[4:5]
	v_mov_b32_e32 v4, v2
	s_andn2_b64 exec, exec, s[4:5]
	s_cbranch_execnz .LBB12_68
.LBB12_69:
	s_or_b64 exec, exec, s[6:7]
	s_getpc_b64 s[4:5]
	s_add_u32 s4, s4, .str.2@rel32@lo+4
	s_addc_u32 s5, s5, .str.2@rel32@hi+12
	s_cmp_lg_u64 s[4:5], 0
	s_cselect_b64 s[0:1], -1, 0
	s_cmp_eq_u64 s[4:5], 0
	s_mov_b64 s[4:5], 0
	s_cbranch_scc1 .LBB12_73
; %bb.70:
	v_mov_b32_e32 v2, 0
	s_getpc_b64 s[4:5]
	s_add_u32 s4, s4, .str.2@rel32@lo+3
	s_addc_u32 s5, s5, .str.2@rel32@hi+11
.LBB12_71:                              ; =>This Inner Loop Header: Depth=1
	global_load_ubyte v3, v2, s[4:5] offset:1
	s_add_u32 s6, s4, 1
	s_addc_u32 s7, s5, 0
	s_mov_b64 s[4:5], s[6:7]
	s_waitcnt vmcnt(0)
	v_cmp_ne_u32_e32 vcc, 0, v3
	s_cbranch_vccnz .LBB12_71
; %bb.72:
	s_getpc_b64 s[4:5]
	s_add_u32 s4, s4, .str.2@rel32@lo+4
	s_addc_u32 s5, s5, .str.2@rel32@hi+12
	s_sub_u32 s4, s6, s4
	s_subb_u32 s5, s7, s5
	s_add_u32 s4, s4, 1
	s_addc_u32 s5, s5, 0
.LBB12_73:
	s_and_b64 vcc, exec, s[0:1]
	s_cbranch_vccz .LBB12_158
; %bb.74:
	s_waitcnt vmcnt(0)
	v_and_b32_e32 v33, 2, v0
	v_mov_b32_e32 v28, 0
	v_and_b32_e32 v4, -3, v0
	v_mov_b32_e32 v5, v1
	v_mov_b32_e32 v10, 2
	;; [unrolled: 1-line block ×3, first 2 shown]
	s_getpc_b64 s[6:7]
	s_add_u32 s6, s6, .str.2@rel32@lo+4
	s_addc_u32 s7, s7, .str.2@rel32@hi+12
	s_branch .LBB12_76
.LBB12_75:                              ;   in Loop: Header=BB12_76 Depth=1
	s_or_b64 exec, exec, s[12:13]
	s_sub_u32 s4, s4, s8
	s_subb_u32 s5, s5, s9
	s_add_u32 s6, s6, s8
	s_addc_u32 s7, s7, s9
	s_cmp_lg_u64 s[4:5], 0
	s_cbranch_scc0 .LBB12_159
.LBB12_76:                              ; =>This Loop Header: Depth=1
                                        ;     Child Loop BB12_79 Depth 2
                                        ;     Child Loop BB12_87 Depth 2
	;; [unrolled: 1-line block ×11, first 2 shown]
	v_cmp_lt_u64_e64 s[0:1], s[4:5], 56
	v_cmp_gt_u64_e64 s[10:11], s[4:5], 7
	s_and_b64 s[0:1], s[0:1], exec
	s_cselect_b32 s9, s5, 0
	s_cselect_b32 s8, s4, 56
	s_add_u32 s0, s6, 8
	s_addc_u32 s1, s7, 0
	s_and_b64 vcc, exec, s[10:11]
	s_cbranch_vccnz .LBB12_80
; %bb.77:                               ;   in Loop: Header=BB12_76 Depth=1
	s_cmp_eq_u64 s[4:5], 0
	s_cbranch_scc1 .LBB12_81
; %bb.78:                               ;   in Loop: Header=BB12_76 Depth=1
	v_mov_b32_e32 v6, 0
	s_lshl_b64 s[0:1], s[8:9], 3
	s_mov_b64 s[10:11], 0
	v_mov_b32_e32 v7, 0
	s_mov_b64 s[12:13], s[6:7]
.LBB12_79:                              ;   Parent Loop BB12_76 Depth=1
                                        ; =>  This Inner Loop Header: Depth=2
	global_load_ubyte v2, v28, s[12:13]
	s_waitcnt vmcnt(0)
	v_and_b32_e32 v27, 0xffff, v2
	v_lshlrev_b64 v[2:3], s10, v[27:28]
	s_add_u32 s10, s10, 8
	s_addc_u32 s11, s11, 0
	s_add_u32 s12, s12, 1
	s_addc_u32 s13, s13, 0
	v_or_b32_e32 v6, v2, v6
	s_cmp_lg_u32 s0, s10
	v_or_b32_e32 v7, v3, v7
	s_cbranch_scc1 .LBB12_79
	s_branch .LBB12_82
.LBB12_80:                              ;   in Loop: Header=BB12_76 Depth=1
	s_mov_b32 s14, 0
	s_branch .LBB12_83
.LBB12_81:                              ;   in Loop: Header=BB12_76 Depth=1
	v_mov_b32_e32 v6, 0
	v_mov_b32_e32 v7, 0
.LBB12_82:                              ;   in Loop: Header=BB12_76 Depth=1
	s_mov_b64 s[0:1], s[6:7]
	s_mov_b32 s14, 0
	s_cbranch_execnz .LBB12_84
.LBB12_83:                              ;   in Loop: Header=BB12_76 Depth=1
	global_load_dwordx2 v[6:7], v28, s[6:7]
	s_add_i32 s14, s8, -8
.LBB12_84:                              ;   in Loop: Header=BB12_76 Depth=1
	s_add_u32 s10, s0, 8
	s_addc_u32 s11, s1, 0
	s_cmp_gt_u32 s14, 7
	s_cbranch_scc1 .LBB12_88
; %bb.85:                               ;   in Loop: Header=BB12_76 Depth=1
	s_cmp_eq_u32 s14, 0
	s_cbranch_scc1 .LBB12_89
; %bb.86:                               ;   in Loop: Header=BB12_76 Depth=1
	v_mov_b32_e32 v12, 0
	s_mov_b64 s[10:11], 0
	v_mov_b32_e32 v13, 0
	s_mov_b64 s[12:13], 0
.LBB12_87:                              ;   Parent Loop BB12_76 Depth=1
                                        ; =>  This Inner Loop Header: Depth=2
	s_add_u32 s16, s0, s12
	s_addc_u32 s17, s1, s13
	global_load_ubyte v2, v28, s[16:17]
	s_add_u32 s12, s12, 1
	s_addc_u32 s13, s13, 0
	s_waitcnt vmcnt(0)
	v_and_b32_e32 v27, 0xffff, v2
	v_lshlrev_b64 v[2:3], s10, v[27:28]
	s_add_u32 s10, s10, 8
	s_addc_u32 s11, s11, 0
	v_or_b32_e32 v12, v2, v12
	s_cmp_lg_u32 s14, s12
	v_or_b32_e32 v13, v3, v13
	s_cbranch_scc1 .LBB12_87
	s_branch .LBB12_90
.LBB12_88:                              ;   in Loop: Header=BB12_76 Depth=1
                                        ; implicit-def: $vgpr12_vgpr13
	s_mov_b32 s15, 0
	s_branch .LBB12_91
.LBB12_89:                              ;   in Loop: Header=BB12_76 Depth=1
	v_mov_b32_e32 v12, 0
	v_mov_b32_e32 v13, 0
.LBB12_90:                              ;   in Loop: Header=BB12_76 Depth=1
	s_mov_b64 s[10:11], s[0:1]
	s_mov_b32 s15, 0
	s_cbranch_execnz .LBB12_92
.LBB12_91:                              ;   in Loop: Header=BB12_76 Depth=1
	global_load_dwordx2 v[12:13], v28, s[0:1]
	s_add_i32 s15, s14, -8
.LBB12_92:                              ;   in Loop: Header=BB12_76 Depth=1
	s_add_u32 s0, s10, 8
	s_addc_u32 s1, s11, 0
	s_cmp_gt_u32 s15, 7
	s_cbranch_scc1 .LBB12_96
; %bb.93:                               ;   in Loop: Header=BB12_76 Depth=1
	s_cmp_eq_u32 s15, 0
	s_cbranch_scc1 .LBB12_97
; %bb.94:                               ;   in Loop: Header=BB12_76 Depth=1
	v_mov_b32_e32 v14, 0
	s_mov_b64 s[0:1], 0
	v_mov_b32_e32 v15, 0
	s_mov_b64 s[12:13], 0
.LBB12_95:                              ;   Parent Loop BB12_76 Depth=1
                                        ; =>  This Inner Loop Header: Depth=2
	s_add_u32 s16, s10, s12
	s_addc_u32 s17, s11, s13
	global_load_ubyte v2, v28, s[16:17]
	s_add_u32 s12, s12, 1
	s_addc_u32 s13, s13, 0
	s_waitcnt vmcnt(0)
	v_and_b32_e32 v27, 0xffff, v2
	v_lshlrev_b64 v[2:3], s0, v[27:28]
	s_add_u32 s0, s0, 8
	s_addc_u32 s1, s1, 0
	v_or_b32_e32 v14, v2, v14
	s_cmp_lg_u32 s15, s12
	v_or_b32_e32 v15, v3, v15
	s_cbranch_scc1 .LBB12_95
	s_branch .LBB12_98
.LBB12_96:                              ;   in Loop: Header=BB12_76 Depth=1
	s_mov_b32 s14, 0
	s_branch .LBB12_99
.LBB12_97:                              ;   in Loop: Header=BB12_76 Depth=1
	v_mov_b32_e32 v14, 0
	v_mov_b32_e32 v15, 0
.LBB12_98:                              ;   in Loop: Header=BB12_76 Depth=1
	s_mov_b64 s[0:1], s[10:11]
	s_mov_b32 s14, 0
	s_cbranch_execnz .LBB12_100
.LBB12_99:                              ;   in Loop: Header=BB12_76 Depth=1
	global_load_dwordx2 v[14:15], v28, s[10:11]
	s_add_i32 s14, s15, -8
.LBB12_100:                             ;   in Loop: Header=BB12_76 Depth=1
	s_add_u32 s10, s0, 8
	s_addc_u32 s11, s1, 0
	s_cmp_gt_u32 s14, 7
	s_cbranch_scc1 .LBB12_104
; %bb.101:                              ;   in Loop: Header=BB12_76 Depth=1
	s_cmp_eq_u32 s14, 0
	s_cbranch_scc1 .LBB12_105
; %bb.102:                              ;   in Loop: Header=BB12_76 Depth=1
	v_mov_b32_e32 v16, 0
	s_mov_b64 s[10:11], 0
	v_mov_b32_e32 v17, 0
	s_mov_b64 s[12:13], 0
.LBB12_103:                             ;   Parent Loop BB12_76 Depth=1
                                        ; =>  This Inner Loop Header: Depth=2
	s_add_u32 s16, s0, s12
	s_addc_u32 s17, s1, s13
	global_load_ubyte v2, v28, s[16:17]
	s_add_u32 s12, s12, 1
	s_addc_u32 s13, s13, 0
	s_waitcnt vmcnt(0)
	v_and_b32_e32 v27, 0xffff, v2
	v_lshlrev_b64 v[2:3], s10, v[27:28]
	s_add_u32 s10, s10, 8
	s_addc_u32 s11, s11, 0
	v_or_b32_e32 v16, v2, v16
	s_cmp_lg_u32 s14, s12
	v_or_b32_e32 v17, v3, v17
	s_cbranch_scc1 .LBB12_103
	s_branch .LBB12_106
.LBB12_104:                             ;   in Loop: Header=BB12_76 Depth=1
                                        ; implicit-def: $vgpr16_vgpr17
	s_mov_b32 s15, 0
	s_branch .LBB12_107
.LBB12_105:                             ;   in Loop: Header=BB12_76 Depth=1
	v_mov_b32_e32 v16, 0
	v_mov_b32_e32 v17, 0
.LBB12_106:                             ;   in Loop: Header=BB12_76 Depth=1
	s_mov_b64 s[10:11], s[0:1]
	s_mov_b32 s15, 0
	s_cbranch_execnz .LBB12_108
.LBB12_107:                             ;   in Loop: Header=BB12_76 Depth=1
	global_load_dwordx2 v[16:17], v28, s[0:1]
	s_add_i32 s15, s14, -8
.LBB12_108:                             ;   in Loop: Header=BB12_76 Depth=1
	s_add_u32 s0, s10, 8
	s_addc_u32 s1, s11, 0
	s_cmp_gt_u32 s15, 7
	s_cbranch_scc1 .LBB12_112
; %bb.109:                              ;   in Loop: Header=BB12_76 Depth=1
	s_cmp_eq_u32 s15, 0
	s_cbranch_scc1 .LBB12_113
; %bb.110:                              ;   in Loop: Header=BB12_76 Depth=1
	v_mov_b32_e32 v18, 0
	s_mov_b64 s[0:1], 0
	v_mov_b32_e32 v19, 0
	s_mov_b64 s[12:13], 0
.LBB12_111:                             ;   Parent Loop BB12_76 Depth=1
                                        ; =>  This Inner Loop Header: Depth=2
	s_add_u32 s16, s10, s12
	s_addc_u32 s17, s11, s13
	global_load_ubyte v2, v28, s[16:17]
	s_add_u32 s12, s12, 1
	s_addc_u32 s13, s13, 0
	s_waitcnt vmcnt(0)
	v_and_b32_e32 v27, 0xffff, v2
	v_lshlrev_b64 v[2:3], s0, v[27:28]
	s_add_u32 s0, s0, 8
	s_addc_u32 s1, s1, 0
	v_or_b32_e32 v18, v2, v18
	s_cmp_lg_u32 s15, s12
	v_or_b32_e32 v19, v3, v19
	s_cbranch_scc1 .LBB12_111
	s_branch .LBB12_114
.LBB12_112:                             ;   in Loop: Header=BB12_76 Depth=1
	s_mov_b32 s14, 0
	s_branch .LBB12_115
.LBB12_113:                             ;   in Loop: Header=BB12_76 Depth=1
	v_mov_b32_e32 v18, 0
	v_mov_b32_e32 v19, 0
.LBB12_114:                             ;   in Loop: Header=BB12_76 Depth=1
	s_mov_b64 s[0:1], s[10:11]
	s_mov_b32 s14, 0
	s_cbranch_execnz .LBB12_116
.LBB12_115:                             ;   in Loop: Header=BB12_76 Depth=1
	global_load_dwordx2 v[18:19], v28, s[10:11]
	s_add_i32 s14, s15, -8
.LBB12_116:                             ;   in Loop: Header=BB12_76 Depth=1
	s_add_u32 s10, s0, 8
	s_addc_u32 s11, s1, 0
	s_cmp_gt_u32 s14, 7
	s_cbranch_scc1 .LBB12_120
; %bb.117:                              ;   in Loop: Header=BB12_76 Depth=1
	s_cmp_eq_u32 s14, 0
	s_cbranch_scc1 .LBB12_121
; %bb.118:                              ;   in Loop: Header=BB12_76 Depth=1
	v_mov_b32_e32 v20, 0
	s_mov_b64 s[10:11], 0
	v_mov_b32_e32 v21, 0
	s_mov_b64 s[12:13], 0
.LBB12_119:                             ;   Parent Loop BB12_76 Depth=1
                                        ; =>  This Inner Loop Header: Depth=2
	s_add_u32 s16, s0, s12
	s_addc_u32 s17, s1, s13
	global_load_ubyte v2, v28, s[16:17]
	s_add_u32 s12, s12, 1
	s_addc_u32 s13, s13, 0
	s_waitcnt vmcnt(0)
	v_and_b32_e32 v27, 0xffff, v2
	v_lshlrev_b64 v[2:3], s10, v[27:28]
	s_add_u32 s10, s10, 8
	s_addc_u32 s11, s11, 0
	v_or_b32_e32 v20, v2, v20
	s_cmp_lg_u32 s14, s12
	v_or_b32_e32 v21, v3, v21
	s_cbranch_scc1 .LBB12_119
	s_branch .LBB12_122
.LBB12_120:                             ;   in Loop: Header=BB12_76 Depth=1
                                        ; implicit-def: $vgpr20_vgpr21
	s_mov_b32 s15, 0
	s_branch .LBB12_123
.LBB12_121:                             ;   in Loop: Header=BB12_76 Depth=1
	v_mov_b32_e32 v20, 0
	v_mov_b32_e32 v21, 0
.LBB12_122:                             ;   in Loop: Header=BB12_76 Depth=1
	s_mov_b64 s[10:11], s[0:1]
	s_mov_b32 s15, 0
	s_cbranch_execnz .LBB12_124
.LBB12_123:                             ;   in Loop: Header=BB12_76 Depth=1
	global_load_dwordx2 v[20:21], v28, s[0:1]
	s_add_i32 s15, s14, -8
.LBB12_124:                             ;   in Loop: Header=BB12_76 Depth=1
	s_cmp_gt_u32 s15, 7
	s_cbranch_scc1 .LBB12_128
; %bb.125:                              ;   in Loop: Header=BB12_76 Depth=1
	s_cmp_eq_u32 s15, 0
	s_cbranch_scc1 .LBB12_129
; %bb.126:                              ;   in Loop: Header=BB12_76 Depth=1
	v_mov_b32_e32 v22, 0
	s_mov_b64 s[0:1], 0
	v_mov_b32_e32 v23, 0
	s_mov_b64 s[12:13], s[10:11]
.LBB12_127:                             ;   Parent Loop BB12_76 Depth=1
                                        ; =>  This Inner Loop Header: Depth=2
	global_load_ubyte v2, v28, s[12:13]
	s_add_i32 s15, s15, -1
	s_waitcnt vmcnt(0)
	v_and_b32_e32 v27, 0xffff, v2
	v_lshlrev_b64 v[2:3], s0, v[27:28]
	s_add_u32 s0, s0, 8
	s_addc_u32 s1, s1, 0
	s_add_u32 s12, s12, 1
	s_addc_u32 s13, s13, 0
	v_or_b32_e32 v22, v2, v22
	s_cmp_lg_u32 s15, 0
	v_or_b32_e32 v23, v3, v23
	s_cbranch_scc1 .LBB12_127
	s_branch .LBB12_130
.LBB12_128:                             ;   in Loop: Header=BB12_76 Depth=1
	s_branch .LBB12_131
.LBB12_129:                             ;   in Loop: Header=BB12_76 Depth=1
	v_mov_b32_e32 v22, 0
	v_mov_b32_e32 v23, 0
.LBB12_130:                             ;   in Loop: Header=BB12_76 Depth=1
	s_cbranch_execnz .LBB12_132
.LBB12_131:                             ;   in Loop: Header=BB12_76 Depth=1
	global_load_dwordx2 v[22:23], v28, s[10:11]
.LBB12_132:                             ;   in Loop: Header=BB12_76 Depth=1
	v_readfirstlane_b32 s0, v32
	v_mov_b32_e32 v2, 0
	v_mov_b32_e32 v3, 0
	v_cmp_eq_u32_e64 s[0:1], s0, v32
	s_and_saveexec_b64 s[10:11], s[0:1]
	s_cbranch_execz .LBB12_138
; %bb.133:                              ;   in Loop: Header=BB12_76 Depth=1
	global_load_dwordx2 v[26:27], v28, s[2:3] offset:24 glc
	s_waitcnt vmcnt(0)
	buffer_wbinvl1_vol
	global_load_dwordx2 v[2:3], v28, s[2:3] offset:40
	global_load_dwordx2 v[8:9], v28, s[2:3]
	s_waitcnt vmcnt(1)
	v_and_b32_e32 v2, v2, v26
	v_and_b32_e32 v3, v3, v27
	v_mul_lo_u32 v3, v3, 24
	v_mul_hi_u32 v24, v2, 24
	v_mul_lo_u32 v2, v2, 24
	v_add_u32_e32 v3, v24, v3
	s_waitcnt vmcnt(0)
	v_add_co_u32_e32 v2, vcc, v8, v2
	v_addc_co_u32_e32 v3, vcc, v9, v3, vcc
	global_load_dwordx2 v[24:25], v[2:3], off glc
	s_waitcnt vmcnt(0)
	global_atomic_cmpswap_x2 v[2:3], v28, v[24:27], s[2:3] offset:24 glc
	s_waitcnt vmcnt(0)
	buffer_wbinvl1_vol
	v_cmp_ne_u64_e32 vcc, v[2:3], v[26:27]
	s_and_saveexec_b64 s[12:13], vcc
	s_cbranch_execz .LBB12_137
; %bb.134:                              ;   in Loop: Header=BB12_76 Depth=1
	s_mov_b64 s[14:15], 0
.LBB12_135:                             ;   Parent Loop BB12_76 Depth=1
                                        ; =>  This Inner Loop Header: Depth=2
	s_sleep 1
	global_load_dwordx2 v[8:9], v28, s[2:3] offset:40
	global_load_dwordx2 v[24:25], v28, s[2:3]
	v_mov_b32_e32 v27, v3
	v_mov_b32_e32 v26, v2
	s_waitcnt vmcnt(1)
	v_and_b32_e32 v2, v8, v26
	s_waitcnt vmcnt(0)
	v_mad_u64_u32 v[2:3], s[16:17], v2, 24, v[24:25]
	v_and_b32_e32 v8, v9, v27
	v_mad_u64_u32 v[8:9], s[16:17], v8, 24, v[3:4]
	v_mov_b32_e32 v3, v8
	global_load_dwordx2 v[24:25], v[2:3], off glc
	s_waitcnt vmcnt(0)
	global_atomic_cmpswap_x2 v[2:3], v28, v[24:27], s[2:3] offset:24 glc
	s_waitcnt vmcnt(0)
	buffer_wbinvl1_vol
	v_cmp_eq_u64_e32 vcc, v[2:3], v[26:27]
	s_or_b64 s[14:15], vcc, s[14:15]
	s_andn2_b64 exec, exec, s[14:15]
	s_cbranch_execnz .LBB12_135
; %bb.136:                              ;   in Loop: Header=BB12_76 Depth=1
	s_or_b64 exec, exec, s[14:15]
.LBB12_137:                             ;   in Loop: Header=BB12_76 Depth=1
	s_or_b64 exec, exec, s[12:13]
.LBB12_138:                             ;   in Loop: Header=BB12_76 Depth=1
	s_or_b64 exec, exec, s[10:11]
	global_load_dwordx2 v[8:9], v28, s[2:3] offset:40
	global_load_dwordx4 v[24:27], v28, s[2:3]
	v_readfirstlane_b32 s11, v3
	v_readfirstlane_b32 s10, v2
	s_mov_b64 s[12:13], exec
	s_waitcnt vmcnt(1)
	v_readfirstlane_b32 s14, v8
	v_readfirstlane_b32 s15, v9
	s_and_b64 s[14:15], s[14:15], s[10:11]
	s_mul_i32 s16, s15, 24
	s_mul_hi_u32 s17, s14, 24
	s_mul_i32 s18, s14, 24
	s_add_i32 s16, s17, s16
	v_mov_b32_e32 v2, s16
	s_waitcnt vmcnt(0)
	v_add_co_u32_e32 v29, vcc, s18, v24
	v_addc_co_u32_e32 v30, vcc, v25, v2, vcc
	s_and_saveexec_b64 s[16:17], s[0:1]
	s_cbranch_execz .LBB12_140
; %bb.139:                              ;   in Loop: Header=BB12_76 Depth=1
	v_mov_b32_e32 v8, s12
	v_mov_b32_e32 v9, s13
	global_store_dwordx4 v[29:30], v[8:11], off offset:8
.LBB12_140:                             ;   in Loop: Header=BB12_76 Depth=1
	s_or_b64 exec, exec, s[16:17]
	s_lshl_b64 s[12:13], s[14:15], 12
	v_mov_b32_e32 v2, s13
	v_add_co_u32_e32 v8, vcc, s12, v26
	v_addc_co_u32_e32 v9, vcc, v27, v2, vcc
	v_cmp_lt_u64_e64 vcc, s[4:5], 57
	s_lshl_b32 s12, s8, 2
	v_cndmask_b32_e32 v2, 0, v33, vcc
	s_add_i32 s12, s12, 28
	v_and_b32_e32 v3, 0xffffff1f, v4
	s_and_b32 s12, s12, 0x1e0
	v_or_b32_e32 v2, v3, v2
	v_or_b32_e32 v4, s12, v2
	v_readfirstlane_b32 s12, v8
	v_readfirstlane_b32 s13, v9
	s_nop 4
	global_store_dwordx4 v31, v[4:7], s[12:13]
	global_store_dwordx4 v31, v[12:15], s[12:13] offset:16
	global_store_dwordx4 v31, v[16:19], s[12:13] offset:32
	;; [unrolled: 1-line block ×3, first 2 shown]
	s_and_saveexec_b64 s[12:13], s[0:1]
	s_cbranch_execz .LBB12_148
; %bb.141:                              ;   in Loop: Header=BB12_76 Depth=1
	global_load_dwordx2 v[14:15], v28, s[2:3] offset:32 glc
	global_load_dwordx2 v[2:3], v28, s[2:3] offset:40
	v_mov_b32_e32 v12, s10
	v_mov_b32_e32 v13, s11
	s_waitcnt vmcnt(0)
	v_readfirstlane_b32 s14, v2
	v_readfirstlane_b32 s15, v3
	s_and_b64 s[14:15], s[14:15], s[10:11]
	s_mul_i32 s15, s15, 24
	s_mul_hi_u32 s16, s14, 24
	s_mul_i32 s14, s14, 24
	s_add_i32 s15, s16, s15
	v_mov_b32_e32 v2, s15
	v_add_co_u32_e32 v6, vcc, s14, v24
	v_addc_co_u32_e32 v7, vcc, v25, v2, vcc
	global_store_dwordx2 v[6:7], v[14:15], off
	s_waitcnt vmcnt(0)
	global_atomic_cmpswap_x2 v[4:5], v28, v[12:15], s[2:3] offset:32 glc
	s_waitcnt vmcnt(0)
	v_cmp_ne_u64_e32 vcc, v[4:5], v[14:15]
	s_and_saveexec_b64 s[14:15], vcc
	s_cbranch_execz .LBB12_144
; %bb.142:                              ;   in Loop: Header=BB12_76 Depth=1
	s_mov_b64 s[16:17], 0
.LBB12_143:                             ;   Parent Loop BB12_76 Depth=1
                                        ; =>  This Inner Loop Header: Depth=2
	s_sleep 1
	global_store_dwordx2 v[6:7], v[4:5], off
	v_mov_b32_e32 v2, s10
	v_mov_b32_e32 v3, s11
	s_waitcnt vmcnt(0)
	global_atomic_cmpswap_x2 v[2:3], v28, v[2:5], s[2:3] offset:32 glc
	s_waitcnt vmcnt(0)
	v_cmp_eq_u64_e32 vcc, v[2:3], v[4:5]
	v_mov_b32_e32 v5, v3
	s_or_b64 s[16:17], vcc, s[16:17]
	v_mov_b32_e32 v4, v2
	s_andn2_b64 exec, exec, s[16:17]
	s_cbranch_execnz .LBB12_143
.LBB12_144:                             ;   in Loop: Header=BB12_76 Depth=1
	s_or_b64 exec, exec, s[14:15]
	global_load_dwordx2 v[2:3], v28, s[2:3] offset:16
	s_mov_b64 s[16:17], exec
	v_mbcnt_lo_u32_b32 v4, s16, 0
	v_mbcnt_hi_u32_b32 v4, s17, v4
	v_cmp_eq_u32_e32 vcc, 0, v4
	s_and_saveexec_b64 s[14:15], vcc
	s_cbranch_execz .LBB12_146
; %bb.145:                              ;   in Loop: Header=BB12_76 Depth=1
	s_bcnt1_i32_b64 s16, s[16:17]
	v_mov_b32_e32 v27, s16
	s_waitcnt vmcnt(0)
	global_atomic_add_x2 v[2:3], v[27:28], off offset:8
.LBB12_146:                             ;   in Loop: Header=BB12_76 Depth=1
	s_or_b64 exec, exec, s[14:15]
	s_waitcnt vmcnt(0)
	global_load_dwordx2 v[4:5], v[2:3], off offset:16
	s_waitcnt vmcnt(0)
	v_cmp_eq_u64_e32 vcc, 0, v[4:5]
	s_cbranch_vccnz .LBB12_148
; %bb.147:                              ;   in Loop: Header=BB12_76 Depth=1
	global_load_dword v27, v[2:3], off offset:24
	s_waitcnt vmcnt(0)
	v_readfirstlane_b32 s14, v27
	s_and_b32 m0, s14, 0xffffff
	global_store_dwordx2 v[4:5], v[27:28], off
	s_sendmsg sendmsg(MSG_INTERRUPT)
.LBB12_148:                             ;   in Loop: Header=BB12_76 Depth=1
	s_or_b64 exec, exec, s[12:13]
	v_add_co_u32_e32 v2, vcc, v8, v31
	v_addc_co_u32_e32 v3, vcc, 0, v9, vcc
	s_branch .LBB12_152
.LBB12_149:                             ;   in Loop: Header=BB12_152 Depth=2
	s_or_b64 exec, exec, s[12:13]
	v_readfirstlane_b32 s12, v4
	s_cmp_eq_u32 s12, 0
	s_cbranch_scc1 .LBB12_151
; %bb.150:                              ;   in Loop: Header=BB12_152 Depth=2
	s_sleep 1
	s_cbranch_execnz .LBB12_152
	s_branch .LBB12_154
.LBB12_151:                             ;   in Loop: Header=BB12_76 Depth=1
	s_branch .LBB12_154
.LBB12_152:                             ;   Parent Loop BB12_76 Depth=1
                                        ; =>  This Inner Loop Header: Depth=2
	v_mov_b32_e32 v4, 1
	s_and_saveexec_b64 s[12:13], s[0:1]
	s_cbranch_execz .LBB12_149
; %bb.153:                              ;   in Loop: Header=BB12_152 Depth=2
	global_load_dword v4, v[29:30], off offset:20 glc
	s_waitcnt vmcnt(0)
	buffer_wbinvl1_vol
	v_and_b32_e32 v4, 1, v4
	s_branch .LBB12_149
.LBB12_154:                             ;   in Loop: Header=BB12_76 Depth=1
	global_load_dwordx2 v[4:5], v[2:3], off
	s_and_saveexec_b64 s[12:13], s[0:1]
	s_cbranch_execz .LBB12_75
; %bb.155:                              ;   in Loop: Header=BB12_76 Depth=1
	global_load_dwordx2 v[2:3], v28, s[2:3] offset:40
	global_load_dwordx2 v[14:15], v28, s[2:3] offset:24 glc
	global_load_dwordx2 v[6:7], v28, s[2:3]
	s_waitcnt vmcnt(2)
	v_readfirstlane_b32 s14, v2
	v_readfirstlane_b32 s15, v3
	s_add_u32 s16, s14, 1
	s_addc_u32 s17, s15, 0
	s_add_u32 s0, s16, s10
	s_addc_u32 s1, s17, s11
	s_cmp_eq_u64 s[0:1], 0
	s_cselect_b32 s1, s17, s1
	s_cselect_b32 s0, s16, s0
	s_and_b64 s[10:11], s[0:1], s[14:15]
	s_mul_i32 s11, s11, 24
	s_mul_hi_u32 s14, s10, 24
	s_mul_i32 s10, s10, 24
	s_add_i32 s11, s14, s11
	v_mov_b32_e32 v3, s11
	s_waitcnt vmcnt(0)
	v_add_co_u32_e32 v2, vcc, s10, v6
	v_addc_co_u32_e32 v3, vcc, v7, v3, vcc
	v_mov_b32_e32 v12, s0
	global_store_dwordx2 v[2:3], v[14:15], off
	v_mov_b32_e32 v13, s1
	s_waitcnt vmcnt(0)
	global_atomic_cmpswap_x2 v[8:9], v28, v[12:15], s[2:3] offset:24 glc
	s_waitcnt vmcnt(0)
	v_cmp_ne_u64_e32 vcc, v[8:9], v[14:15]
	s_and_b64 exec, exec, vcc
	s_cbranch_execz .LBB12_75
; %bb.156:                              ;   in Loop: Header=BB12_76 Depth=1
	s_mov_b64 s[10:11], 0
.LBB12_157:                             ;   Parent Loop BB12_76 Depth=1
                                        ; =>  This Inner Loop Header: Depth=2
	s_sleep 1
	global_store_dwordx2 v[2:3], v[8:9], off
	v_mov_b32_e32 v6, s0
	v_mov_b32_e32 v7, s1
	s_waitcnt vmcnt(0)
	global_atomic_cmpswap_x2 v[6:7], v28, v[6:9], s[2:3] offset:24 glc
	s_waitcnt vmcnt(0)
	v_cmp_eq_u64_e32 vcc, v[6:7], v[8:9]
	v_mov_b32_e32 v9, v7
	s_or_b64 s[10:11], vcc, s[10:11]
	v_mov_b32_e32 v8, v6
	s_andn2_b64 exec, exec, s[10:11]
	s_cbranch_execnz .LBB12_157
	s_branch .LBB12_75
.LBB12_158:
	s_mov_b64 s[0:1], -1
                                        ; implicit-def: $vgpr4_vgpr5
	s_branch .LBB12_160
.LBB12_159:
	s_mov_b64 s[0:1], 0
.LBB12_160:
	s_and_b64 vcc, exec, s[0:1]
	s_cbranch_vccz .LBB12_187
; %bb.161:
	v_readfirstlane_b32 s0, v32
	v_mov_b32_e32 v8, 0
	v_mov_b32_e32 v9, 0
	v_cmp_eq_u32_e64 s[0:1], s0, v32
	s_and_saveexec_b64 s[4:5], s[0:1]
	s_cbranch_execz .LBB12_167
; %bb.162:
	v_mov_b32_e32 v2, 0
	global_load_dwordx2 v[5:6], v2, s[2:3] offset:24 glc
	s_waitcnt vmcnt(0)
	buffer_wbinvl1_vol
	global_load_dwordx2 v[3:4], v2, s[2:3] offset:40
	global_load_dwordx2 v[7:8], v2, s[2:3]
	s_waitcnt vmcnt(1)
	v_and_b32_e32 v3, v3, v5
	v_and_b32_e32 v4, v4, v6
	v_mul_lo_u32 v4, v4, 24
	v_mul_hi_u32 v9, v3, 24
	v_mul_lo_u32 v3, v3, 24
	v_add_u32_e32 v4, v9, v4
	s_waitcnt vmcnt(0)
	v_add_co_u32_e32 v3, vcc, v7, v3
	v_addc_co_u32_e32 v4, vcc, v8, v4, vcc
	global_load_dwordx2 v[3:4], v[3:4], off glc
	s_waitcnt vmcnt(0)
	global_atomic_cmpswap_x2 v[8:9], v2, v[3:6], s[2:3] offset:24 glc
	s_waitcnt vmcnt(0)
	buffer_wbinvl1_vol
	v_cmp_ne_u64_e32 vcc, v[8:9], v[5:6]
	s_and_saveexec_b64 s[6:7], vcc
	s_cbranch_execz .LBB12_166
; %bb.163:
	s_mov_b64 s[8:9], 0
.LBB12_164:                             ; =>This Inner Loop Header: Depth=1
	s_sleep 1
	global_load_dwordx2 v[3:4], v2, s[2:3] offset:40
	global_load_dwordx2 v[10:11], v2, s[2:3]
	v_mov_b32_e32 v5, v8
	v_mov_b32_e32 v6, v9
	s_waitcnt vmcnt(1)
	v_and_b32_e32 v3, v3, v5
	s_waitcnt vmcnt(0)
	v_mad_u64_u32 v[7:8], s[10:11], v3, 24, v[10:11]
	v_and_b32_e32 v4, v4, v6
	v_mov_b32_e32 v3, v8
	v_mad_u64_u32 v[3:4], s[10:11], v4, 24, v[3:4]
	v_mov_b32_e32 v8, v3
	global_load_dwordx2 v[3:4], v[7:8], off glc
	s_waitcnt vmcnt(0)
	global_atomic_cmpswap_x2 v[8:9], v2, v[3:6], s[2:3] offset:24 glc
	s_waitcnt vmcnt(0)
	buffer_wbinvl1_vol
	v_cmp_eq_u64_e32 vcc, v[8:9], v[5:6]
	s_or_b64 s[8:9], vcc, s[8:9]
	s_andn2_b64 exec, exec, s[8:9]
	s_cbranch_execnz .LBB12_164
; %bb.165:
	s_or_b64 exec, exec, s[8:9]
.LBB12_166:
	s_or_b64 exec, exec, s[6:7]
.LBB12_167:
	s_or_b64 exec, exec, s[4:5]
	v_mov_b32_e32 v2, 0
	global_load_dwordx2 v[10:11], v2, s[2:3] offset:40
	global_load_dwordx4 v[4:7], v2, s[2:3]
	v_readfirstlane_b32 s5, v9
	v_readfirstlane_b32 s4, v8
	s_mov_b64 s[6:7], exec
	s_waitcnt vmcnt(1)
	v_readfirstlane_b32 s8, v10
	v_readfirstlane_b32 s9, v11
	s_and_b64 s[8:9], s[8:9], s[4:5]
	s_mul_i32 s10, s9, 24
	s_mul_hi_u32 s11, s8, 24
	s_mul_i32 s12, s8, 24
	s_add_i32 s10, s11, s10
	v_mov_b32_e32 v3, s10
	s_waitcnt vmcnt(0)
	v_add_co_u32_e32 v8, vcc, s12, v4
	v_addc_co_u32_e32 v9, vcc, v5, v3, vcc
	s_and_saveexec_b64 s[10:11], s[0:1]
	s_cbranch_execz .LBB12_169
; %bb.168:
	v_mov_b32_e32 v11, s7
	v_mov_b32_e32 v10, s6
	;; [unrolled: 1-line block ×4, first 2 shown]
	global_store_dwordx4 v[8:9], v[10:13], off offset:8
.LBB12_169:
	s_or_b64 exec, exec, s[10:11]
	s_lshl_b64 s[6:7], s[8:9], 12
	v_mov_b32_e32 v3, s7
	v_add_co_u32_e32 v10, vcc, s6, v6
	v_addc_co_u32_e32 v11, vcc, v7, v3, vcc
	s_movk_i32 s6, 0xff1f
	v_and_or_b32 v0, v0, s6, 32
	s_mov_b32 s8, 0
	v_mov_b32_e32 v3, v2
	v_readfirstlane_b32 s6, v10
	v_readfirstlane_b32 s7, v11
	v_add_co_u32_e32 v6, vcc, v10, v31
	s_mov_b32 s9, s8
	s_mov_b32 s10, s8
	;; [unrolled: 1-line block ×3, first 2 shown]
	s_nop 0
	global_store_dwordx4 v31, v[0:3], s[6:7]
	v_addc_co_u32_e32 v7, vcc, 0, v11, vcc
	v_mov_b32_e32 v0, s8
	v_mov_b32_e32 v1, s9
	;; [unrolled: 1-line block ×4, first 2 shown]
	global_store_dwordx4 v31, v[0:3], s[6:7] offset:16
	global_store_dwordx4 v31, v[0:3], s[6:7] offset:32
	;; [unrolled: 1-line block ×3, first 2 shown]
	s_and_saveexec_b64 s[6:7], s[0:1]
	s_cbranch_execz .LBB12_177
; %bb.170:
	v_mov_b32_e32 v10, 0
	global_load_dwordx2 v[13:14], v10, s[2:3] offset:32 glc
	global_load_dwordx2 v[0:1], v10, s[2:3] offset:40
	v_mov_b32_e32 v11, s4
	v_mov_b32_e32 v12, s5
	s_waitcnt vmcnt(0)
	v_readfirstlane_b32 s8, v0
	v_readfirstlane_b32 s9, v1
	s_and_b64 s[8:9], s[8:9], s[4:5]
	s_mul_i32 s9, s9, 24
	s_mul_hi_u32 s10, s8, 24
	s_mul_i32 s8, s8, 24
	s_add_i32 s9, s10, s9
	v_mov_b32_e32 v0, s9
	v_add_co_u32_e32 v4, vcc, s8, v4
	v_addc_co_u32_e32 v5, vcc, v5, v0, vcc
	global_store_dwordx2 v[4:5], v[13:14], off
	s_waitcnt vmcnt(0)
	global_atomic_cmpswap_x2 v[2:3], v10, v[11:14], s[2:3] offset:32 glc
	s_waitcnt vmcnt(0)
	v_cmp_ne_u64_e32 vcc, v[2:3], v[13:14]
	s_and_saveexec_b64 s[8:9], vcc
	s_cbranch_execz .LBB12_173
; %bb.171:
	s_mov_b64 s[10:11], 0
.LBB12_172:                             ; =>This Inner Loop Header: Depth=1
	s_sleep 1
	global_store_dwordx2 v[4:5], v[2:3], off
	v_mov_b32_e32 v0, s4
	v_mov_b32_e32 v1, s5
	s_waitcnt vmcnt(0)
	global_atomic_cmpswap_x2 v[0:1], v10, v[0:3], s[2:3] offset:32 glc
	s_waitcnt vmcnt(0)
	v_cmp_eq_u64_e32 vcc, v[0:1], v[2:3]
	v_mov_b32_e32 v3, v1
	s_or_b64 s[10:11], vcc, s[10:11]
	v_mov_b32_e32 v2, v0
	s_andn2_b64 exec, exec, s[10:11]
	s_cbranch_execnz .LBB12_172
.LBB12_173:
	s_or_b64 exec, exec, s[8:9]
	v_mov_b32_e32 v3, 0
	global_load_dwordx2 v[0:1], v3, s[2:3] offset:16
	s_mov_b64 s[8:9], exec
	v_mbcnt_lo_u32_b32 v2, s8, 0
	v_mbcnt_hi_u32_b32 v2, s9, v2
	v_cmp_eq_u32_e32 vcc, 0, v2
	s_and_saveexec_b64 s[10:11], vcc
	s_cbranch_execz .LBB12_175
; %bb.174:
	s_bcnt1_i32_b64 s8, s[8:9]
	v_mov_b32_e32 v2, s8
	s_waitcnt vmcnt(0)
	global_atomic_add_x2 v[0:1], v[2:3], off offset:8
.LBB12_175:
	s_or_b64 exec, exec, s[10:11]
	s_waitcnt vmcnt(0)
	global_load_dwordx2 v[2:3], v[0:1], off offset:16
	s_waitcnt vmcnt(0)
	v_cmp_eq_u64_e32 vcc, 0, v[2:3]
	s_cbranch_vccnz .LBB12_177
; %bb.176:
	global_load_dword v0, v[0:1], off offset:24
	v_mov_b32_e32 v1, 0
	s_waitcnt vmcnt(0)
	v_readfirstlane_b32 s8, v0
	s_and_b32 m0, s8, 0xffffff
	global_store_dwordx2 v[2:3], v[0:1], off
	s_sendmsg sendmsg(MSG_INTERRUPT)
.LBB12_177:
	s_or_b64 exec, exec, s[6:7]
	s_branch .LBB12_181
.LBB12_178:                             ;   in Loop: Header=BB12_181 Depth=1
	s_or_b64 exec, exec, s[6:7]
	v_readfirstlane_b32 s6, v0
	s_cmp_eq_u32 s6, 0
	s_cbranch_scc1 .LBB12_180
; %bb.179:                              ;   in Loop: Header=BB12_181 Depth=1
	s_sleep 1
	s_cbranch_execnz .LBB12_181
	s_branch .LBB12_183
.LBB12_180:
	s_branch .LBB12_183
.LBB12_181:                             ; =>This Inner Loop Header: Depth=1
	v_mov_b32_e32 v0, 1
	s_and_saveexec_b64 s[6:7], s[0:1]
	s_cbranch_execz .LBB12_178
; %bb.182:                              ;   in Loop: Header=BB12_181 Depth=1
	global_load_dword v0, v[8:9], off offset:20 glc
	s_waitcnt vmcnt(0)
	buffer_wbinvl1_vol
	v_and_b32_e32 v0, 1, v0
	s_branch .LBB12_178
.LBB12_183:
	global_load_dwordx2 v[4:5], v[6:7], off
	s_and_saveexec_b64 s[6:7], s[0:1]
	s_cbranch_execz .LBB12_186
; %bb.184:
	v_mov_b32_e32 v8, 0
	global_load_dwordx2 v[0:1], v8, s[2:3] offset:40
	global_load_dwordx2 v[11:12], v8, s[2:3] offset:24 glc
	global_load_dwordx2 v[2:3], v8, s[2:3]
	s_waitcnt vmcnt(2)
	v_readfirstlane_b32 s8, v0
	v_readfirstlane_b32 s9, v1
	s_add_u32 s10, s8, 1
	s_addc_u32 s11, s9, 0
	s_add_u32 s0, s10, s4
	s_addc_u32 s1, s11, s5
	s_cmp_eq_u64 s[0:1], 0
	s_cselect_b32 s1, s11, s1
	s_cselect_b32 s0, s10, s0
	s_and_b64 s[4:5], s[0:1], s[8:9]
	s_mul_i32 s5, s5, 24
	s_mul_hi_u32 s8, s4, 24
	s_mul_i32 s4, s4, 24
	s_add_i32 s5, s8, s5
	v_mov_b32_e32 v0, s5
	s_waitcnt vmcnt(0)
	v_add_co_u32_e32 v6, vcc, s4, v2
	v_addc_co_u32_e32 v7, vcc, v3, v0, vcc
	v_mov_b32_e32 v9, s0
	global_store_dwordx2 v[6:7], v[11:12], off
	v_mov_b32_e32 v10, s1
	s_waitcnt vmcnt(0)
	global_atomic_cmpswap_x2 v[2:3], v8, v[9:12], s[2:3] offset:24 glc
	s_mov_b64 s[4:5], 0
	s_waitcnt vmcnt(0)
	v_cmp_ne_u64_e32 vcc, v[2:3], v[11:12]
	s_and_b64 exec, exec, vcc
	s_cbranch_execz .LBB12_186
.LBB12_185:                             ; =>This Inner Loop Header: Depth=1
	s_sleep 1
	global_store_dwordx2 v[6:7], v[2:3], off
	v_mov_b32_e32 v0, s0
	v_mov_b32_e32 v1, s1
	s_waitcnt vmcnt(0)
	global_atomic_cmpswap_x2 v[0:1], v8, v[0:3], s[2:3] offset:24 glc
	s_waitcnt vmcnt(0)
	v_cmp_eq_u64_e32 vcc, v[0:1], v[2:3]
	v_mov_b32_e32 v3, v1
	s_or_b64 s[4:5], vcc, s[4:5]
	v_mov_b32_e32 v2, v0
	s_andn2_b64 exec, exec, s[4:5]
	s_cbranch_execnz .LBB12_185
.LBB12_186:
	s_or_b64 exec, exec, s[6:7]
.LBB12_187:
	s_getpc_b64 s[4:5]
	s_add_u32 s4, s4, .str.1@rel32@lo+4
	s_addc_u32 s5, s5, .str.1@rel32@hi+12
	s_cmp_lg_u64 s[4:5], 0
	s_cbranch_scc0 .LBB12_272
; %bb.188:
	s_waitcnt vmcnt(0)
	v_and_b32_e32 v29, 2, v4
	v_mov_b32_e32 v26, 0
	v_and_b32_e32 v0, -3, v4
	v_mov_b32_e32 v1, v5
	s_mov_b64 s[6:7], 0x61
	v_mov_b32_e32 v8, 2
	v_mov_b32_e32 v9, 1
	s_branch .LBB12_190
.LBB12_189:                             ;   in Loop: Header=BB12_190 Depth=1
	s_or_b64 exec, exec, s[12:13]
	s_sub_u32 s6, s6, s8
	s_subb_u32 s7, s7, s9
	s_add_u32 s4, s4, s8
	s_addc_u32 s5, s5, s9
	s_cmp_lg_u64 s[6:7], 0
	s_cbranch_scc0 .LBB12_273
.LBB12_190:                             ; =>This Loop Header: Depth=1
                                        ;     Child Loop BB12_193 Depth 2
                                        ;     Child Loop BB12_201 Depth 2
	;; [unrolled: 1-line block ×11, first 2 shown]
	v_cmp_lt_u64_e64 s[0:1], s[6:7], 56
	v_cmp_gt_u64_e64 s[10:11], s[6:7], 7
	s_and_b64 s[0:1], s[0:1], exec
	s_cselect_b32 s9, s7, 0
	s_cselect_b32 s8, s6, 56
	s_add_u32 s0, s4, 8
	s_addc_u32 s1, s5, 0
	s_and_b64 vcc, exec, s[10:11]
	s_cbranch_vccnz .LBB12_194
; %bb.191:                              ;   in Loop: Header=BB12_190 Depth=1
	s_cmp_eq_u64 s[6:7], 0
	s_cbranch_scc1 .LBB12_195
; %bb.192:                              ;   in Loop: Header=BB12_190 Depth=1
	v_mov_b32_e32 v2, 0
	s_lshl_b64 s[0:1], s[8:9], 3
	s_mov_b64 s[10:11], 0
	v_mov_b32_e32 v3, 0
	s_mov_b64 s[12:13], s[4:5]
.LBB12_193:                             ;   Parent Loop BB12_190 Depth=1
                                        ; =>  This Inner Loop Header: Depth=2
	global_load_ubyte v6, v26, s[12:13]
	s_waitcnt vmcnt(0)
	v_and_b32_e32 v25, 0xffff, v6
	v_lshlrev_b64 v[6:7], s10, v[25:26]
	s_add_u32 s10, s10, 8
	s_addc_u32 s11, s11, 0
	s_add_u32 s12, s12, 1
	s_addc_u32 s13, s13, 0
	v_or_b32_e32 v2, v6, v2
	s_cmp_lg_u32 s0, s10
	v_or_b32_e32 v3, v7, v3
	s_cbranch_scc1 .LBB12_193
	s_branch .LBB12_196
.LBB12_194:                             ;   in Loop: Header=BB12_190 Depth=1
	s_mov_b32 s14, 0
	s_branch .LBB12_197
.LBB12_195:                             ;   in Loop: Header=BB12_190 Depth=1
	v_mov_b32_e32 v2, 0
	v_mov_b32_e32 v3, 0
.LBB12_196:                             ;   in Loop: Header=BB12_190 Depth=1
	s_mov_b64 s[0:1], s[4:5]
	s_mov_b32 s14, 0
	s_cbranch_execnz .LBB12_198
.LBB12_197:                             ;   in Loop: Header=BB12_190 Depth=1
	global_load_dwordx2 v[2:3], v26, s[4:5]
	s_add_i32 s14, s8, -8
.LBB12_198:                             ;   in Loop: Header=BB12_190 Depth=1
	s_add_u32 s10, s0, 8
	s_addc_u32 s11, s1, 0
	s_cmp_gt_u32 s14, 7
	s_cbranch_scc1 .LBB12_202
; %bb.199:                              ;   in Loop: Header=BB12_190 Depth=1
	s_cmp_eq_u32 s14, 0
	s_cbranch_scc1 .LBB12_203
; %bb.200:                              ;   in Loop: Header=BB12_190 Depth=1
	v_mov_b32_e32 v10, 0
	s_mov_b64 s[10:11], 0
	v_mov_b32_e32 v11, 0
	s_mov_b64 s[12:13], 0
.LBB12_201:                             ;   Parent Loop BB12_190 Depth=1
                                        ; =>  This Inner Loop Header: Depth=2
	s_add_u32 s16, s0, s12
	s_addc_u32 s17, s1, s13
	global_load_ubyte v6, v26, s[16:17]
	s_add_u32 s12, s12, 1
	s_addc_u32 s13, s13, 0
	s_waitcnt vmcnt(0)
	v_and_b32_e32 v25, 0xffff, v6
	v_lshlrev_b64 v[6:7], s10, v[25:26]
	s_add_u32 s10, s10, 8
	s_addc_u32 s11, s11, 0
	v_or_b32_e32 v10, v6, v10
	s_cmp_lg_u32 s14, s12
	v_or_b32_e32 v11, v7, v11
	s_cbranch_scc1 .LBB12_201
	s_branch .LBB12_204
.LBB12_202:                             ;   in Loop: Header=BB12_190 Depth=1
                                        ; implicit-def: $vgpr10_vgpr11
	s_mov_b32 s15, 0
	s_branch .LBB12_205
.LBB12_203:                             ;   in Loop: Header=BB12_190 Depth=1
	v_mov_b32_e32 v10, 0
	v_mov_b32_e32 v11, 0
.LBB12_204:                             ;   in Loop: Header=BB12_190 Depth=1
	s_mov_b64 s[10:11], s[0:1]
	s_mov_b32 s15, 0
	s_cbranch_execnz .LBB12_206
.LBB12_205:                             ;   in Loop: Header=BB12_190 Depth=1
	global_load_dwordx2 v[10:11], v26, s[0:1]
	s_add_i32 s15, s14, -8
.LBB12_206:                             ;   in Loop: Header=BB12_190 Depth=1
	s_add_u32 s0, s10, 8
	s_addc_u32 s1, s11, 0
	s_cmp_gt_u32 s15, 7
	s_cbranch_scc1 .LBB12_210
; %bb.207:                              ;   in Loop: Header=BB12_190 Depth=1
	s_cmp_eq_u32 s15, 0
	s_cbranch_scc1 .LBB12_211
; %bb.208:                              ;   in Loop: Header=BB12_190 Depth=1
	v_mov_b32_e32 v12, 0
	s_mov_b64 s[0:1], 0
	v_mov_b32_e32 v13, 0
	s_mov_b64 s[12:13], 0
.LBB12_209:                             ;   Parent Loop BB12_190 Depth=1
                                        ; =>  This Inner Loop Header: Depth=2
	s_add_u32 s16, s10, s12
	s_addc_u32 s17, s11, s13
	global_load_ubyte v6, v26, s[16:17]
	s_add_u32 s12, s12, 1
	s_addc_u32 s13, s13, 0
	s_waitcnt vmcnt(0)
	v_and_b32_e32 v25, 0xffff, v6
	v_lshlrev_b64 v[6:7], s0, v[25:26]
	s_add_u32 s0, s0, 8
	s_addc_u32 s1, s1, 0
	v_or_b32_e32 v12, v6, v12
	s_cmp_lg_u32 s15, s12
	v_or_b32_e32 v13, v7, v13
	s_cbranch_scc1 .LBB12_209
	s_branch .LBB12_212
.LBB12_210:                             ;   in Loop: Header=BB12_190 Depth=1
	s_mov_b32 s14, 0
	s_branch .LBB12_213
.LBB12_211:                             ;   in Loop: Header=BB12_190 Depth=1
	v_mov_b32_e32 v12, 0
	v_mov_b32_e32 v13, 0
.LBB12_212:                             ;   in Loop: Header=BB12_190 Depth=1
	s_mov_b64 s[0:1], s[10:11]
	s_mov_b32 s14, 0
	s_cbranch_execnz .LBB12_214
.LBB12_213:                             ;   in Loop: Header=BB12_190 Depth=1
	global_load_dwordx2 v[12:13], v26, s[10:11]
	s_add_i32 s14, s15, -8
.LBB12_214:                             ;   in Loop: Header=BB12_190 Depth=1
	s_add_u32 s10, s0, 8
	s_addc_u32 s11, s1, 0
	s_cmp_gt_u32 s14, 7
	s_cbranch_scc1 .LBB12_218
; %bb.215:                              ;   in Loop: Header=BB12_190 Depth=1
	s_cmp_eq_u32 s14, 0
	s_cbranch_scc1 .LBB12_219
; %bb.216:                              ;   in Loop: Header=BB12_190 Depth=1
	v_mov_b32_e32 v14, 0
	s_mov_b64 s[10:11], 0
	v_mov_b32_e32 v15, 0
	s_mov_b64 s[12:13], 0
.LBB12_217:                             ;   Parent Loop BB12_190 Depth=1
                                        ; =>  This Inner Loop Header: Depth=2
	s_add_u32 s16, s0, s12
	s_addc_u32 s17, s1, s13
	global_load_ubyte v6, v26, s[16:17]
	s_add_u32 s12, s12, 1
	s_addc_u32 s13, s13, 0
	s_waitcnt vmcnt(0)
	v_and_b32_e32 v25, 0xffff, v6
	v_lshlrev_b64 v[6:7], s10, v[25:26]
	s_add_u32 s10, s10, 8
	s_addc_u32 s11, s11, 0
	v_or_b32_e32 v14, v6, v14
	s_cmp_lg_u32 s14, s12
	v_or_b32_e32 v15, v7, v15
	s_cbranch_scc1 .LBB12_217
	s_branch .LBB12_220
.LBB12_218:                             ;   in Loop: Header=BB12_190 Depth=1
                                        ; implicit-def: $vgpr14_vgpr15
	s_mov_b32 s15, 0
	s_branch .LBB12_221
.LBB12_219:                             ;   in Loop: Header=BB12_190 Depth=1
	v_mov_b32_e32 v14, 0
	v_mov_b32_e32 v15, 0
.LBB12_220:                             ;   in Loop: Header=BB12_190 Depth=1
	s_mov_b64 s[10:11], s[0:1]
	s_mov_b32 s15, 0
	s_cbranch_execnz .LBB12_222
.LBB12_221:                             ;   in Loop: Header=BB12_190 Depth=1
	global_load_dwordx2 v[14:15], v26, s[0:1]
	s_add_i32 s15, s14, -8
.LBB12_222:                             ;   in Loop: Header=BB12_190 Depth=1
	s_add_u32 s0, s10, 8
	s_addc_u32 s1, s11, 0
	s_cmp_gt_u32 s15, 7
	s_cbranch_scc1 .LBB12_226
; %bb.223:                              ;   in Loop: Header=BB12_190 Depth=1
	s_cmp_eq_u32 s15, 0
	s_cbranch_scc1 .LBB12_227
; %bb.224:                              ;   in Loop: Header=BB12_190 Depth=1
	v_mov_b32_e32 v16, 0
	s_mov_b64 s[0:1], 0
	v_mov_b32_e32 v17, 0
	s_mov_b64 s[12:13], 0
.LBB12_225:                             ;   Parent Loop BB12_190 Depth=1
                                        ; =>  This Inner Loop Header: Depth=2
	s_add_u32 s16, s10, s12
	s_addc_u32 s17, s11, s13
	global_load_ubyte v6, v26, s[16:17]
	s_add_u32 s12, s12, 1
	s_addc_u32 s13, s13, 0
	s_waitcnt vmcnt(0)
	v_and_b32_e32 v25, 0xffff, v6
	v_lshlrev_b64 v[6:7], s0, v[25:26]
	s_add_u32 s0, s0, 8
	s_addc_u32 s1, s1, 0
	v_or_b32_e32 v16, v6, v16
	s_cmp_lg_u32 s15, s12
	v_or_b32_e32 v17, v7, v17
	s_cbranch_scc1 .LBB12_225
	s_branch .LBB12_228
.LBB12_226:                             ;   in Loop: Header=BB12_190 Depth=1
	s_mov_b32 s14, 0
	s_branch .LBB12_229
.LBB12_227:                             ;   in Loop: Header=BB12_190 Depth=1
	v_mov_b32_e32 v16, 0
	v_mov_b32_e32 v17, 0
.LBB12_228:                             ;   in Loop: Header=BB12_190 Depth=1
	s_mov_b64 s[0:1], s[10:11]
	s_mov_b32 s14, 0
	s_cbranch_execnz .LBB12_230
.LBB12_229:                             ;   in Loop: Header=BB12_190 Depth=1
	global_load_dwordx2 v[16:17], v26, s[10:11]
	s_add_i32 s14, s15, -8
.LBB12_230:                             ;   in Loop: Header=BB12_190 Depth=1
	s_add_u32 s10, s0, 8
	s_addc_u32 s11, s1, 0
	s_cmp_gt_u32 s14, 7
	s_cbranch_scc1 .LBB12_234
; %bb.231:                              ;   in Loop: Header=BB12_190 Depth=1
	s_cmp_eq_u32 s14, 0
	s_cbranch_scc1 .LBB12_235
; %bb.232:                              ;   in Loop: Header=BB12_190 Depth=1
	v_mov_b32_e32 v18, 0
	s_mov_b64 s[10:11], 0
	v_mov_b32_e32 v19, 0
	s_mov_b64 s[12:13], 0
.LBB12_233:                             ;   Parent Loop BB12_190 Depth=1
                                        ; =>  This Inner Loop Header: Depth=2
	s_add_u32 s16, s0, s12
	s_addc_u32 s17, s1, s13
	global_load_ubyte v6, v26, s[16:17]
	s_add_u32 s12, s12, 1
	s_addc_u32 s13, s13, 0
	s_waitcnt vmcnt(0)
	v_and_b32_e32 v25, 0xffff, v6
	v_lshlrev_b64 v[6:7], s10, v[25:26]
	s_add_u32 s10, s10, 8
	s_addc_u32 s11, s11, 0
	v_or_b32_e32 v18, v6, v18
	s_cmp_lg_u32 s14, s12
	v_or_b32_e32 v19, v7, v19
	s_cbranch_scc1 .LBB12_233
	s_branch .LBB12_236
.LBB12_234:                             ;   in Loop: Header=BB12_190 Depth=1
                                        ; implicit-def: $vgpr18_vgpr19
	s_mov_b32 s15, 0
	s_branch .LBB12_237
.LBB12_235:                             ;   in Loop: Header=BB12_190 Depth=1
	v_mov_b32_e32 v18, 0
	v_mov_b32_e32 v19, 0
.LBB12_236:                             ;   in Loop: Header=BB12_190 Depth=1
	s_mov_b64 s[10:11], s[0:1]
	s_mov_b32 s15, 0
	s_cbranch_execnz .LBB12_238
.LBB12_237:                             ;   in Loop: Header=BB12_190 Depth=1
	global_load_dwordx2 v[18:19], v26, s[0:1]
	s_add_i32 s15, s14, -8
.LBB12_238:                             ;   in Loop: Header=BB12_190 Depth=1
	s_cmp_gt_u32 s15, 7
	s_cbranch_scc1 .LBB12_242
; %bb.239:                              ;   in Loop: Header=BB12_190 Depth=1
	s_cmp_eq_u32 s15, 0
	s_cbranch_scc1 .LBB12_243
; %bb.240:                              ;   in Loop: Header=BB12_190 Depth=1
	v_mov_b32_e32 v20, 0
	s_mov_b64 s[0:1], 0
	v_mov_b32_e32 v21, 0
	s_mov_b64 s[12:13], s[10:11]
.LBB12_241:                             ;   Parent Loop BB12_190 Depth=1
                                        ; =>  This Inner Loop Header: Depth=2
	global_load_ubyte v6, v26, s[12:13]
	s_add_i32 s15, s15, -1
	s_waitcnt vmcnt(0)
	v_and_b32_e32 v25, 0xffff, v6
	v_lshlrev_b64 v[6:7], s0, v[25:26]
	s_add_u32 s0, s0, 8
	s_addc_u32 s1, s1, 0
	s_add_u32 s12, s12, 1
	s_addc_u32 s13, s13, 0
	v_or_b32_e32 v20, v6, v20
	s_cmp_lg_u32 s15, 0
	v_or_b32_e32 v21, v7, v21
	s_cbranch_scc1 .LBB12_241
	s_branch .LBB12_244
.LBB12_242:                             ;   in Loop: Header=BB12_190 Depth=1
	s_branch .LBB12_245
.LBB12_243:                             ;   in Loop: Header=BB12_190 Depth=1
	v_mov_b32_e32 v20, 0
	v_mov_b32_e32 v21, 0
.LBB12_244:                             ;   in Loop: Header=BB12_190 Depth=1
	s_cbranch_execnz .LBB12_246
.LBB12_245:                             ;   in Loop: Header=BB12_190 Depth=1
	global_load_dwordx2 v[20:21], v26, s[10:11]
.LBB12_246:                             ;   in Loop: Header=BB12_190 Depth=1
	v_readfirstlane_b32 s0, v32
	v_mov_b32_e32 v6, 0
	v_mov_b32_e32 v7, 0
	v_cmp_eq_u32_e64 s[0:1], s0, v32
	s_and_saveexec_b64 s[10:11], s[0:1]
	s_cbranch_execz .LBB12_252
; %bb.247:                              ;   in Loop: Header=BB12_190 Depth=1
	global_load_dwordx2 v[24:25], v26, s[2:3] offset:24 glc
	s_waitcnt vmcnt(0)
	buffer_wbinvl1_vol
	global_load_dwordx2 v[6:7], v26, s[2:3] offset:40
	global_load_dwordx2 v[22:23], v26, s[2:3]
	s_waitcnt vmcnt(1)
	v_and_b32_e32 v6, v6, v24
	v_and_b32_e32 v7, v7, v25
	v_mul_lo_u32 v7, v7, 24
	v_mul_hi_u32 v27, v6, 24
	v_mul_lo_u32 v6, v6, 24
	v_add_u32_e32 v7, v27, v7
	s_waitcnt vmcnt(0)
	v_add_co_u32_e32 v6, vcc, v22, v6
	v_addc_co_u32_e32 v7, vcc, v23, v7, vcc
	global_load_dwordx2 v[22:23], v[6:7], off glc
	s_waitcnt vmcnt(0)
	global_atomic_cmpswap_x2 v[6:7], v26, v[22:25], s[2:3] offset:24 glc
	s_waitcnt vmcnt(0)
	buffer_wbinvl1_vol
	v_cmp_ne_u64_e32 vcc, v[6:7], v[24:25]
	s_and_saveexec_b64 s[12:13], vcc
	s_cbranch_execz .LBB12_251
; %bb.248:                              ;   in Loop: Header=BB12_190 Depth=1
	s_mov_b64 s[14:15], 0
.LBB12_249:                             ;   Parent Loop BB12_190 Depth=1
                                        ; =>  This Inner Loop Header: Depth=2
	s_sleep 1
	global_load_dwordx2 v[22:23], v26, s[2:3] offset:40
	global_load_dwordx2 v[27:28], v26, s[2:3]
	v_mov_b32_e32 v25, v7
	v_mov_b32_e32 v24, v6
	s_waitcnt vmcnt(1)
	v_and_b32_e32 v6, v22, v24
	s_waitcnt vmcnt(0)
	v_mad_u64_u32 v[6:7], s[16:17], v6, 24, v[27:28]
	v_and_b32_e32 v22, v23, v25
	v_mad_u64_u32 v[22:23], s[16:17], v22, 24, v[7:8]
	v_mov_b32_e32 v7, v22
	global_load_dwordx2 v[22:23], v[6:7], off glc
	s_waitcnt vmcnt(0)
	global_atomic_cmpswap_x2 v[6:7], v26, v[22:25], s[2:3] offset:24 glc
	s_waitcnt vmcnt(0)
	buffer_wbinvl1_vol
	v_cmp_eq_u64_e32 vcc, v[6:7], v[24:25]
	s_or_b64 s[14:15], vcc, s[14:15]
	s_andn2_b64 exec, exec, s[14:15]
	s_cbranch_execnz .LBB12_249
; %bb.250:                              ;   in Loop: Header=BB12_190 Depth=1
	s_or_b64 exec, exec, s[14:15]
.LBB12_251:                             ;   in Loop: Header=BB12_190 Depth=1
	s_or_b64 exec, exec, s[12:13]
.LBB12_252:                             ;   in Loop: Header=BB12_190 Depth=1
	s_or_b64 exec, exec, s[10:11]
	global_load_dwordx2 v[27:28], v26, s[2:3] offset:40
	global_load_dwordx4 v[22:25], v26, s[2:3]
	v_readfirstlane_b32 s11, v7
	v_readfirstlane_b32 s10, v6
	s_mov_b64 s[12:13], exec
	s_waitcnt vmcnt(1)
	v_readfirstlane_b32 s14, v27
	v_readfirstlane_b32 s15, v28
	s_and_b64 s[14:15], s[14:15], s[10:11]
	s_mul_i32 s16, s15, 24
	s_mul_hi_u32 s17, s14, 24
	s_mul_i32 s18, s14, 24
	s_add_i32 s16, s17, s16
	v_mov_b32_e32 v6, s16
	s_waitcnt vmcnt(0)
	v_add_co_u32_e32 v27, vcc, s18, v22
	v_addc_co_u32_e32 v28, vcc, v23, v6, vcc
	s_and_saveexec_b64 s[16:17], s[0:1]
	s_cbranch_execz .LBB12_254
; %bb.253:                              ;   in Loop: Header=BB12_190 Depth=1
	v_mov_b32_e32 v6, s12
	v_mov_b32_e32 v7, s13
	global_store_dwordx4 v[27:28], v[6:9], off offset:8
.LBB12_254:                             ;   in Loop: Header=BB12_190 Depth=1
	s_or_b64 exec, exec, s[16:17]
	s_lshl_b64 s[12:13], s[14:15], 12
	v_mov_b32_e32 v6, s13
	v_add_co_u32_e32 v24, vcc, s12, v24
	v_addc_co_u32_e32 v30, vcc, v25, v6, vcc
	v_cmp_lt_u64_e64 vcc, s[6:7], 57
	s_lshl_b32 s12, s8, 2
	v_cndmask_b32_e32 v6, 0, v29, vcc
	s_add_i32 s12, s12, 28
	v_and_b32_e32 v0, 0xffffff1f, v0
	s_and_b32 s12, s12, 0x1e0
	v_or_b32_e32 v0, v0, v6
	v_or_b32_e32 v0, s12, v0
	v_readfirstlane_b32 s12, v24
	v_readfirstlane_b32 s13, v30
	s_nop 4
	global_store_dwordx4 v31, v[0:3], s[12:13]
	global_store_dwordx4 v31, v[10:13], s[12:13] offset:16
	global_store_dwordx4 v31, v[14:17], s[12:13] offset:32
	;; [unrolled: 1-line block ×3, first 2 shown]
	s_and_saveexec_b64 s[12:13], s[0:1]
	s_cbranch_execz .LBB12_262
; %bb.255:                              ;   in Loop: Header=BB12_190 Depth=1
	global_load_dwordx2 v[12:13], v26, s[2:3] offset:32 glc
	global_load_dwordx2 v[0:1], v26, s[2:3] offset:40
	v_mov_b32_e32 v10, s10
	v_mov_b32_e32 v11, s11
	s_waitcnt vmcnt(0)
	v_readfirstlane_b32 s14, v0
	v_readfirstlane_b32 s15, v1
	s_and_b64 s[14:15], s[14:15], s[10:11]
	s_mul_i32 s15, s15, 24
	s_mul_hi_u32 s16, s14, 24
	s_mul_i32 s14, s14, 24
	s_add_i32 s15, s16, s15
	v_mov_b32_e32 v0, s15
	v_add_co_u32_e32 v6, vcc, s14, v22
	v_addc_co_u32_e32 v7, vcc, v23, v0, vcc
	global_store_dwordx2 v[6:7], v[12:13], off
	s_waitcnt vmcnt(0)
	global_atomic_cmpswap_x2 v[2:3], v26, v[10:13], s[2:3] offset:32 glc
	s_waitcnt vmcnt(0)
	v_cmp_ne_u64_e32 vcc, v[2:3], v[12:13]
	s_and_saveexec_b64 s[14:15], vcc
	s_cbranch_execz .LBB12_258
; %bb.256:                              ;   in Loop: Header=BB12_190 Depth=1
	s_mov_b64 s[16:17], 0
.LBB12_257:                             ;   Parent Loop BB12_190 Depth=1
                                        ; =>  This Inner Loop Header: Depth=2
	s_sleep 1
	global_store_dwordx2 v[6:7], v[2:3], off
	v_mov_b32_e32 v0, s10
	v_mov_b32_e32 v1, s11
	s_waitcnt vmcnt(0)
	global_atomic_cmpswap_x2 v[0:1], v26, v[0:3], s[2:3] offset:32 glc
	s_waitcnt vmcnt(0)
	v_cmp_eq_u64_e32 vcc, v[0:1], v[2:3]
	v_mov_b32_e32 v3, v1
	s_or_b64 s[16:17], vcc, s[16:17]
	v_mov_b32_e32 v2, v0
	s_andn2_b64 exec, exec, s[16:17]
	s_cbranch_execnz .LBB12_257
.LBB12_258:                             ;   in Loop: Header=BB12_190 Depth=1
	s_or_b64 exec, exec, s[14:15]
	global_load_dwordx2 v[0:1], v26, s[2:3] offset:16
	s_mov_b64 s[16:17], exec
	v_mbcnt_lo_u32_b32 v2, s16, 0
	v_mbcnt_hi_u32_b32 v2, s17, v2
	v_cmp_eq_u32_e32 vcc, 0, v2
	s_and_saveexec_b64 s[14:15], vcc
	s_cbranch_execz .LBB12_260
; %bb.259:                              ;   in Loop: Header=BB12_190 Depth=1
	s_bcnt1_i32_b64 s16, s[16:17]
	v_mov_b32_e32 v25, s16
	s_waitcnt vmcnt(0)
	global_atomic_add_x2 v[0:1], v[25:26], off offset:8
.LBB12_260:                             ;   in Loop: Header=BB12_190 Depth=1
	s_or_b64 exec, exec, s[14:15]
	s_waitcnt vmcnt(0)
	global_load_dwordx2 v[2:3], v[0:1], off offset:16
	s_waitcnt vmcnt(0)
	v_cmp_eq_u64_e32 vcc, 0, v[2:3]
	s_cbranch_vccnz .LBB12_262
; %bb.261:                              ;   in Loop: Header=BB12_190 Depth=1
	global_load_dword v25, v[0:1], off offset:24
	s_waitcnt vmcnt(0)
	v_readfirstlane_b32 s14, v25
	s_and_b32 m0, s14, 0xffffff
	global_store_dwordx2 v[2:3], v[25:26], off
	s_sendmsg sendmsg(MSG_INTERRUPT)
.LBB12_262:                             ;   in Loop: Header=BB12_190 Depth=1
	s_or_b64 exec, exec, s[12:13]
	v_add_co_u32_e32 v0, vcc, v24, v31
	v_addc_co_u32_e32 v1, vcc, 0, v30, vcc
	s_branch .LBB12_266
.LBB12_263:                             ;   in Loop: Header=BB12_266 Depth=2
	s_or_b64 exec, exec, s[12:13]
	v_readfirstlane_b32 s12, v2
	s_cmp_eq_u32 s12, 0
	s_cbranch_scc1 .LBB12_265
; %bb.264:                              ;   in Loop: Header=BB12_266 Depth=2
	s_sleep 1
	s_cbranch_execnz .LBB12_266
	s_branch .LBB12_268
.LBB12_265:                             ;   in Loop: Header=BB12_190 Depth=1
	s_branch .LBB12_268
.LBB12_266:                             ;   Parent Loop BB12_190 Depth=1
                                        ; =>  This Inner Loop Header: Depth=2
	v_mov_b32_e32 v2, 1
	s_and_saveexec_b64 s[12:13], s[0:1]
	s_cbranch_execz .LBB12_263
; %bb.267:                              ;   in Loop: Header=BB12_266 Depth=2
	global_load_dword v2, v[27:28], off offset:20 glc
	s_waitcnt vmcnt(0)
	buffer_wbinvl1_vol
	v_and_b32_e32 v2, 1, v2
	s_branch .LBB12_263
.LBB12_268:                             ;   in Loop: Header=BB12_190 Depth=1
	global_load_dwordx2 v[0:1], v[0:1], off
	s_and_saveexec_b64 s[12:13], s[0:1]
	s_cbranch_execz .LBB12_189
; %bb.269:                              ;   in Loop: Header=BB12_190 Depth=1
	global_load_dwordx2 v[2:3], v26, s[2:3] offset:40
	global_load_dwordx2 v[14:15], v26, s[2:3] offset:24 glc
	global_load_dwordx2 v[6:7], v26, s[2:3]
	s_waitcnt vmcnt(2)
	v_readfirstlane_b32 s14, v2
	v_readfirstlane_b32 s15, v3
	s_add_u32 s16, s14, 1
	s_addc_u32 s17, s15, 0
	s_add_u32 s0, s16, s10
	s_addc_u32 s1, s17, s11
	s_cmp_eq_u64 s[0:1], 0
	s_cselect_b32 s1, s17, s1
	s_cselect_b32 s0, s16, s0
	s_and_b64 s[10:11], s[0:1], s[14:15]
	s_mul_i32 s11, s11, 24
	s_mul_hi_u32 s14, s10, 24
	s_mul_i32 s10, s10, 24
	s_add_i32 s11, s14, s11
	v_mov_b32_e32 v3, s11
	s_waitcnt vmcnt(0)
	v_add_co_u32_e32 v2, vcc, s10, v6
	v_addc_co_u32_e32 v3, vcc, v7, v3, vcc
	v_mov_b32_e32 v12, s0
	global_store_dwordx2 v[2:3], v[14:15], off
	v_mov_b32_e32 v13, s1
	s_waitcnt vmcnt(0)
	global_atomic_cmpswap_x2 v[12:13], v26, v[12:15], s[2:3] offset:24 glc
	s_waitcnt vmcnt(0)
	v_cmp_ne_u64_e32 vcc, v[12:13], v[14:15]
	s_and_b64 exec, exec, vcc
	s_cbranch_execz .LBB12_189
; %bb.270:                              ;   in Loop: Header=BB12_190 Depth=1
	s_mov_b64 s[10:11], 0
.LBB12_271:                             ;   Parent Loop BB12_190 Depth=1
                                        ; =>  This Inner Loop Header: Depth=2
	s_sleep 1
	global_store_dwordx2 v[2:3], v[12:13], off
	v_mov_b32_e32 v10, s0
	v_mov_b32_e32 v11, s1
	s_waitcnt vmcnt(0)
	global_atomic_cmpswap_x2 v[6:7], v26, v[10:13], s[2:3] offset:24 glc
	s_waitcnt vmcnt(0)
	v_cmp_eq_u64_e32 vcc, v[6:7], v[12:13]
	v_mov_b32_e32 v13, v7
	s_or_b64 s[10:11], vcc, s[10:11]
	v_mov_b32_e32 v12, v6
	s_andn2_b64 exec, exec, s[10:11]
	s_cbranch_execnz .LBB12_271
	s_branch .LBB12_189
.LBB12_272:
	s_mov_b64 s[0:1], -1
                                        ; implicit-def: $vgpr0_vgpr1
	s_branch .LBB12_274
.LBB12_273:
	s_mov_b64 s[0:1], 0
.LBB12_274:
	s_and_b64 vcc, exec, s[0:1]
	s_cbranch_vccz .LBB12_301
; %bb.275:
	v_readfirstlane_b32 s0, v32
	v_mov_b32_e32 v7, 0
	v_mov_b32_e32 v8, 0
	v_cmp_eq_u32_e64 s[0:1], s0, v32
	s_and_saveexec_b64 s[4:5], s[0:1]
	s_cbranch_execz .LBB12_281
; %bb.276:
	s_waitcnt vmcnt(0)
	v_mov_b32_e32 v0, 0
	global_load_dwordx2 v[9:10], v0, s[2:3] offset:24 glc
	s_waitcnt vmcnt(0)
	buffer_wbinvl1_vol
	global_load_dwordx2 v[1:2], v0, s[2:3] offset:40
	global_load_dwordx2 v[6:7], v0, s[2:3]
	s_waitcnt vmcnt(1)
	v_and_b32_e32 v1, v1, v9
	v_and_b32_e32 v2, v2, v10
	v_mul_lo_u32 v2, v2, 24
	v_mul_hi_u32 v3, v1, 24
	v_mul_lo_u32 v1, v1, 24
	v_add_u32_e32 v2, v3, v2
	s_waitcnt vmcnt(0)
	v_add_co_u32_e32 v1, vcc, v6, v1
	v_addc_co_u32_e32 v2, vcc, v7, v2, vcc
	global_load_dwordx2 v[7:8], v[1:2], off glc
	s_waitcnt vmcnt(0)
	global_atomic_cmpswap_x2 v[7:8], v0, v[7:10], s[2:3] offset:24 glc
	s_waitcnt vmcnt(0)
	buffer_wbinvl1_vol
	v_cmp_ne_u64_e32 vcc, v[7:8], v[9:10]
	s_and_saveexec_b64 s[6:7], vcc
	s_cbranch_execz .LBB12_280
; %bb.277:
	s_mov_b64 s[8:9], 0
.LBB12_278:                             ; =>This Inner Loop Header: Depth=1
	s_sleep 1
	global_load_dwordx2 v[1:2], v0, s[2:3] offset:40
	global_load_dwordx2 v[11:12], v0, s[2:3]
	v_mov_b32_e32 v10, v8
	v_mov_b32_e32 v9, v7
	s_waitcnt vmcnt(1)
	v_and_b32_e32 v1, v1, v9
	s_waitcnt vmcnt(0)
	v_mad_u64_u32 v[6:7], s[10:11], v1, 24, v[11:12]
	v_and_b32_e32 v2, v2, v10
	v_mov_b32_e32 v1, v7
	v_mad_u64_u32 v[1:2], s[10:11], v2, 24, v[1:2]
	v_mov_b32_e32 v7, v1
	global_load_dwordx2 v[7:8], v[6:7], off glc
	s_waitcnt vmcnt(0)
	global_atomic_cmpswap_x2 v[7:8], v0, v[7:10], s[2:3] offset:24 glc
	s_waitcnt vmcnt(0)
	buffer_wbinvl1_vol
	v_cmp_eq_u64_e32 vcc, v[7:8], v[9:10]
	s_or_b64 s[8:9], vcc, s[8:9]
	s_andn2_b64 exec, exec, s[8:9]
	s_cbranch_execnz .LBB12_278
; %bb.279:
	s_or_b64 exec, exec, s[8:9]
.LBB12_280:
	s_or_b64 exec, exec, s[6:7]
.LBB12_281:
	s_or_b64 exec, exec, s[4:5]
	v_mov_b32_e32 v6, 0
	global_load_dwordx2 v[9:10], v6, s[2:3] offset:40
	global_load_dwordx4 v[0:3], v6, s[2:3]
	v_readfirstlane_b32 s5, v8
	v_readfirstlane_b32 s4, v7
	s_mov_b64 s[6:7], exec
	s_waitcnt vmcnt(1)
	v_readfirstlane_b32 s8, v9
	v_readfirstlane_b32 s9, v10
	s_and_b64 s[8:9], s[8:9], s[4:5]
	s_mul_i32 s10, s9, 24
	s_mul_hi_u32 s11, s8, 24
	s_mul_i32 s12, s8, 24
	s_add_i32 s10, s11, s10
	v_mov_b32_e32 v7, s10
	s_waitcnt vmcnt(0)
	v_add_co_u32_e32 v8, vcc, s12, v0
	v_addc_co_u32_e32 v9, vcc, v1, v7, vcc
	s_and_saveexec_b64 s[10:11], s[0:1]
	s_cbranch_execz .LBB12_283
; %bb.282:
	v_mov_b32_e32 v11, s7
	v_mov_b32_e32 v10, s6
	;; [unrolled: 1-line block ×4, first 2 shown]
	global_store_dwordx4 v[8:9], v[10:13], off offset:8
.LBB12_283:
	s_or_b64 exec, exec, s[10:11]
	s_lshl_b64 s[6:7], s[8:9], 12
	v_mov_b32_e32 v7, s7
	v_add_co_u32_e32 v2, vcc, s6, v2
	v_addc_co_u32_e32 v3, vcc, v3, v7, vcc
	s_movk_i32 s6, 0xff1f
	v_and_or_b32 v4, v4, s6, 32
	v_add_co_u32_e32 v10, vcc, v2, v31
	s_mov_b32 s8, 0
	v_mov_b32_e32 v7, v6
	v_readfirstlane_b32 s6, v2
	v_readfirstlane_b32 s7, v3
	v_addc_co_u32_e32 v11, vcc, 0, v3, vcc
	s_mov_b32 s9, s8
	s_mov_b32 s10, s8
	s_mov_b32 s11, s8
	s_nop 0
	global_store_dwordx4 v31, v[4:7], s[6:7]
	v_mov_b32_e32 v2, s8
	v_mov_b32_e32 v3, s9
	v_mov_b32_e32 v4, s10
	v_mov_b32_e32 v5, s11
	global_store_dwordx4 v31, v[2:5], s[6:7] offset:16
	global_store_dwordx4 v31, v[2:5], s[6:7] offset:32
	;; [unrolled: 1-line block ×3, first 2 shown]
	s_and_saveexec_b64 s[6:7], s[0:1]
	s_cbranch_execz .LBB12_291
; %bb.284:
	v_mov_b32_e32 v6, 0
	global_load_dwordx2 v[14:15], v6, s[2:3] offset:32 glc
	global_load_dwordx2 v[2:3], v6, s[2:3] offset:40
	v_mov_b32_e32 v12, s4
	v_mov_b32_e32 v13, s5
	s_waitcnt vmcnt(0)
	v_readfirstlane_b32 s8, v2
	v_readfirstlane_b32 s9, v3
	s_and_b64 s[8:9], s[8:9], s[4:5]
	s_mul_i32 s9, s9, 24
	s_mul_hi_u32 s10, s8, 24
	s_mul_i32 s8, s8, 24
	s_add_i32 s9, s10, s9
	v_mov_b32_e32 v2, s9
	v_add_co_u32_e32 v4, vcc, s8, v0
	v_addc_co_u32_e32 v5, vcc, v1, v2, vcc
	global_store_dwordx2 v[4:5], v[14:15], off
	s_waitcnt vmcnt(0)
	global_atomic_cmpswap_x2 v[2:3], v6, v[12:15], s[2:3] offset:32 glc
	s_waitcnt vmcnt(0)
	v_cmp_ne_u64_e32 vcc, v[2:3], v[14:15]
	s_and_saveexec_b64 s[8:9], vcc
	s_cbranch_execz .LBB12_287
; %bb.285:
	s_mov_b64 s[10:11], 0
.LBB12_286:                             ; =>This Inner Loop Header: Depth=1
	s_sleep 1
	global_store_dwordx2 v[4:5], v[2:3], off
	v_mov_b32_e32 v0, s4
	v_mov_b32_e32 v1, s5
	s_waitcnt vmcnt(0)
	global_atomic_cmpswap_x2 v[0:1], v6, v[0:3], s[2:3] offset:32 glc
	s_waitcnt vmcnt(0)
	v_cmp_eq_u64_e32 vcc, v[0:1], v[2:3]
	v_mov_b32_e32 v3, v1
	s_or_b64 s[10:11], vcc, s[10:11]
	v_mov_b32_e32 v2, v0
	s_andn2_b64 exec, exec, s[10:11]
	s_cbranch_execnz .LBB12_286
.LBB12_287:
	s_or_b64 exec, exec, s[8:9]
	v_mov_b32_e32 v3, 0
	global_load_dwordx2 v[0:1], v3, s[2:3] offset:16
	s_mov_b64 s[8:9], exec
	v_mbcnt_lo_u32_b32 v2, s8, 0
	v_mbcnt_hi_u32_b32 v2, s9, v2
	v_cmp_eq_u32_e32 vcc, 0, v2
	s_and_saveexec_b64 s[10:11], vcc
	s_cbranch_execz .LBB12_289
; %bb.288:
	s_bcnt1_i32_b64 s8, s[8:9]
	v_mov_b32_e32 v2, s8
	s_waitcnt vmcnt(0)
	global_atomic_add_x2 v[0:1], v[2:3], off offset:8
.LBB12_289:
	s_or_b64 exec, exec, s[10:11]
	s_waitcnt vmcnt(0)
	global_load_dwordx2 v[2:3], v[0:1], off offset:16
	s_waitcnt vmcnt(0)
	v_cmp_eq_u64_e32 vcc, 0, v[2:3]
	s_cbranch_vccnz .LBB12_291
; %bb.290:
	global_load_dword v0, v[0:1], off offset:24
	v_mov_b32_e32 v1, 0
	s_waitcnt vmcnt(0)
	v_readfirstlane_b32 s8, v0
	s_and_b32 m0, s8, 0xffffff
	global_store_dwordx2 v[2:3], v[0:1], off
	s_sendmsg sendmsg(MSG_INTERRUPT)
.LBB12_291:
	s_or_b64 exec, exec, s[6:7]
	s_branch .LBB12_295
.LBB12_292:                             ;   in Loop: Header=BB12_295 Depth=1
	s_or_b64 exec, exec, s[6:7]
	v_readfirstlane_b32 s6, v0
	s_cmp_eq_u32 s6, 0
	s_cbranch_scc1 .LBB12_294
; %bb.293:                              ;   in Loop: Header=BB12_295 Depth=1
	s_sleep 1
	s_cbranch_execnz .LBB12_295
	s_branch .LBB12_297
.LBB12_294:
	s_branch .LBB12_297
.LBB12_295:                             ; =>This Inner Loop Header: Depth=1
	v_mov_b32_e32 v0, 1
	s_and_saveexec_b64 s[6:7], s[0:1]
	s_cbranch_execz .LBB12_292
; %bb.296:                              ;   in Loop: Header=BB12_295 Depth=1
	global_load_dword v0, v[8:9], off offset:20 glc
	s_waitcnt vmcnt(0)
	buffer_wbinvl1_vol
	v_and_b32_e32 v0, 1, v0
	s_branch .LBB12_292
.LBB12_297:
	global_load_dwordx2 v[0:1], v[10:11], off
	s_and_saveexec_b64 s[6:7], s[0:1]
	s_cbranch_execz .LBB12_300
; %bb.298:
	v_mov_b32_e32 v8, 0
	global_load_dwordx2 v[2:3], v8, s[2:3] offset:40
	global_load_dwordx2 v[11:12], v8, s[2:3] offset:24 glc
	global_load_dwordx2 v[4:5], v8, s[2:3]
	s_waitcnt vmcnt(2)
	v_readfirstlane_b32 s8, v2
	v_readfirstlane_b32 s9, v3
	s_add_u32 s10, s8, 1
	s_addc_u32 s11, s9, 0
	s_add_u32 s0, s10, s4
	s_addc_u32 s1, s11, s5
	s_cmp_eq_u64 s[0:1], 0
	s_cselect_b32 s1, s11, s1
	s_cselect_b32 s0, s10, s0
	s_and_b64 s[4:5], s[0:1], s[8:9]
	s_mul_i32 s5, s5, 24
	s_mul_hi_u32 s8, s4, 24
	s_mul_i32 s4, s4, 24
	s_add_i32 s5, s8, s5
	v_mov_b32_e32 v2, s5
	s_waitcnt vmcnt(0)
	v_add_co_u32_e32 v6, vcc, s4, v4
	v_addc_co_u32_e32 v7, vcc, v5, v2, vcc
	v_mov_b32_e32 v9, s0
	global_store_dwordx2 v[6:7], v[11:12], off
	v_mov_b32_e32 v10, s1
	s_waitcnt vmcnt(0)
	global_atomic_cmpswap_x2 v[4:5], v8, v[9:12], s[2:3] offset:24 glc
	s_mov_b64 s[4:5], 0
	s_waitcnt vmcnt(0)
	v_cmp_ne_u64_e32 vcc, v[4:5], v[11:12]
	s_and_b64 exec, exec, vcc
	s_cbranch_execz .LBB12_300
.LBB12_299:                             ; =>This Inner Loop Header: Depth=1
	s_sleep 1
	global_store_dwordx2 v[6:7], v[4:5], off
	v_mov_b32_e32 v2, s0
	v_mov_b32_e32 v3, s1
	s_waitcnt vmcnt(0)
	global_atomic_cmpswap_x2 v[2:3], v8, v[2:5], s[2:3] offset:24 glc
	s_waitcnt vmcnt(0)
	v_cmp_eq_u64_e32 vcc, v[2:3], v[4:5]
	v_mov_b32_e32 v5, v3
	s_or_b64 s[4:5], vcc, s[4:5]
	v_mov_b32_e32 v4, v2
	s_andn2_b64 exec, exec, s[4:5]
	s_cbranch_execnz .LBB12_299
.LBB12_300:
	s_or_b64 exec, exec, s[6:7]
.LBB12_301:
	s_getpc_b64 s[4:5]
	s_add_u32 s4, s4, __FUNCTION__._ZN9rocsparseL38csr2csr_compress_use_warp_start_deviceILj256ELj32ELj2EfEEvi21rocsparse_index_base_PKT2_PKiS1_PS2_PiPKjS2_@rel32@lo+4
	s_addc_u32 s5, s5, __FUNCTION__._ZN9rocsparseL38csr2csr_compress_use_warp_start_deviceILj256ELj32ELj2EfEEvi21rocsparse_index_base_PKT2_PKiS1_PS2_PiPKjS2_@rel32@hi+12
	s_cmp_lg_u64 s[4:5], 0
	s_cbranch_scc0 .LBB12_386
; %bb.302:
	s_waitcnt vmcnt(0)
	v_and_b32_e32 v29, 2, v0
	v_mov_b32_e32 v26, 0
	v_and_b32_e32 v2, -3, v0
	v_mov_b32_e32 v3, v1
	s_mov_b64 s[6:7], 39
	v_mov_b32_e32 v8, 2
	v_mov_b32_e32 v9, 1
	s_branch .LBB12_304
.LBB12_303:                             ;   in Loop: Header=BB12_304 Depth=1
	s_or_b64 exec, exec, s[12:13]
	s_sub_u32 s6, s6, s8
	s_subb_u32 s7, s7, s9
	s_add_u32 s4, s4, s8
	s_addc_u32 s5, s5, s9
	s_cmp_lg_u64 s[6:7], 0
	s_cbranch_scc0 .LBB12_387
.LBB12_304:                             ; =>This Loop Header: Depth=1
                                        ;     Child Loop BB12_307 Depth 2
                                        ;     Child Loop BB12_315 Depth 2
	;; [unrolled: 1-line block ×11, first 2 shown]
	v_cmp_lt_u64_e64 s[0:1], s[6:7], 56
	v_cmp_gt_u64_e64 s[10:11], s[6:7], 7
	s_and_b64 s[0:1], s[0:1], exec
	s_cselect_b32 s9, s7, 0
	s_cselect_b32 s8, s6, 56
	s_add_u32 s0, s4, 8
	s_addc_u32 s1, s5, 0
	s_and_b64 vcc, exec, s[10:11]
	s_cbranch_vccnz .LBB12_308
; %bb.305:                              ;   in Loop: Header=BB12_304 Depth=1
	s_cmp_eq_u64 s[6:7], 0
	s_cbranch_scc1 .LBB12_309
; %bb.306:                              ;   in Loop: Header=BB12_304 Depth=1
	v_mov_b32_e32 v4, 0
	s_lshl_b64 s[0:1], s[8:9], 3
	s_mov_b64 s[10:11], 0
	v_mov_b32_e32 v5, 0
	s_mov_b64 s[12:13], s[4:5]
.LBB12_307:                             ;   Parent Loop BB12_304 Depth=1
                                        ; =>  This Inner Loop Header: Depth=2
	global_load_ubyte v6, v26, s[12:13]
	s_waitcnt vmcnt(0)
	v_and_b32_e32 v25, 0xffff, v6
	v_lshlrev_b64 v[6:7], s10, v[25:26]
	s_add_u32 s10, s10, 8
	s_addc_u32 s11, s11, 0
	s_add_u32 s12, s12, 1
	s_addc_u32 s13, s13, 0
	v_or_b32_e32 v4, v6, v4
	s_cmp_lg_u32 s0, s10
	v_or_b32_e32 v5, v7, v5
	s_cbranch_scc1 .LBB12_307
	s_branch .LBB12_310
.LBB12_308:                             ;   in Loop: Header=BB12_304 Depth=1
	s_mov_b32 s14, 0
	s_branch .LBB12_311
.LBB12_309:                             ;   in Loop: Header=BB12_304 Depth=1
	v_mov_b32_e32 v4, 0
	v_mov_b32_e32 v5, 0
.LBB12_310:                             ;   in Loop: Header=BB12_304 Depth=1
	s_mov_b64 s[0:1], s[4:5]
	s_mov_b32 s14, 0
	s_cbranch_execnz .LBB12_312
.LBB12_311:                             ;   in Loop: Header=BB12_304 Depth=1
	global_load_dwordx2 v[4:5], v26, s[4:5]
	s_add_i32 s14, s8, -8
.LBB12_312:                             ;   in Loop: Header=BB12_304 Depth=1
	s_add_u32 s10, s0, 8
	s_addc_u32 s11, s1, 0
	s_cmp_gt_u32 s14, 7
	s_cbranch_scc1 .LBB12_316
; %bb.313:                              ;   in Loop: Header=BB12_304 Depth=1
	s_cmp_eq_u32 s14, 0
	s_cbranch_scc1 .LBB12_317
; %bb.314:                              ;   in Loop: Header=BB12_304 Depth=1
	v_mov_b32_e32 v10, 0
	s_mov_b64 s[10:11], 0
	v_mov_b32_e32 v11, 0
	s_mov_b64 s[12:13], 0
.LBB12_315:                             ;   Parent Loop BB12_304 Depth=1
                                        ; =>  This Inner Loop Header: Depth=2
	s_add_u32 s16, s0, s12
	s_addc_u32 s17, s1, s13
	global_load_ubyte v6, v26, s[16:17]
	s_add_u32 s12, s12, 1
	s_addc_u32 s13, s13, 0
	s_waitcnt vmcnt(0)
	v_and_b32_e32 v25, 0xffff, v6
	v_lshlrev_b64 v[6:7], s10, v[25:26]
	s_add_u32 s10, s10, 8
	s_addc_u32 s11, s11, 0
	v_or_b32_e32 v10, v6, v10
	s_cmp_lg_u32 s14, s12
	v_or_b32_e32 v11, v7, v11
	s_cbranch_scc1 .LBB12_315
	s_branch .LBB12_318
.LBB12_316:                             ;   in Loop: Header=BB12_304 Depth=1
                                        ; implicit-def: $vgpr10_vgpr11
	s_mov_b32 s15, 0
	s_branch .LBB12_319
.LBB12_317:                             ;   in Loop: Header=BB12_304 Depth=1
	v_mov_b32_e32 v10, 0
	v_mov_b32_e32 v11, 0
.LBB12_318:                             ;   in Loop: Header=BB12_304 Depth=1
	s_mov_b64 s[10:11], s[0:1]
	s_mov_b32 s15, 0
	s_cbranch_execnz .LBB12_320
.LBB12_319:                             ;   in Loop: Header=BB12_304 Depth=1
	global_load_dwordx2 v[10:11], v26, s[0:1]
	s_add_i32 s15, s14, -8
.LBB12_320:                             ;   in Loop: Header=BB12_304 Depth=1
	s_add_u32 s0, s10, 8
	s_addc_u32 s1, s11, 0
	s_cmp_gt_u32 s15, 7
	s_cbranch_scc1 .LBB12_324
; %bb.321:                              ;   in Loop: Header=BB12_304 Depth=1
	s_cmp_eq_u32 s15, 0
	s_cbranch_scc1 .LBB12_325
; %bb.322:                              ;   in Loop: Header=BB12_304 Depth=1
	v_mov_b32_e32 v12, 0
	s_mov_b64 s[0:1], 0
	v_mov_b32_e32 v13, 0
	s_mov_b64 s[12:13], 0
.LBB12_323:                             ;   Parent Loop BB12_304 Depth=1
                                        ; =>  This Inner Loop Header: Depth=2
	s_add_u32 s16, s10, s12
	s_addc_u32 s17, s11, s13
	global_load_ubyte v6, v26, s[16:17]
	s_add_u32 s12, s12, 1
	s_addc_u32 s13, s13, 0
	s_waitcnt vmcnt(0)
	v_and_b32_e32 v25, 0xffff, v6
	v_lshlrev_b64 v[6:7], s0, v[25:26]
	s_add_u32 s0, s0, 8
	s_addc_u32 s1, s1, 0
	v_or_b32_e32 v12, v6, v12
	s_cmp_lg_u32 s15, s12
	v_or_b32_e32 v13, v7, v13
	s_cbranch_scc1 .LBB12_323
	s_branch .LBB12_326
.LBB12_324:                             ;   in Loop: Header=BB12_304 Depth=1
	s_mov_b32 s14, 0
	s_branch .LBB12_327
.LBB12_325:                             ;   in Loop: Header=BB12_304 Depth=1
	v_mov_b32_e32 v12, 0
	v_mov_b32_e32 v13, 0
.LBB12_326:                             ;   in Loop: Header=BB12_304 Depth=1
	s_mov_b64 s[0:1], s[10:11]
	s_mov_b32 s14, 0
	s_cbranch_execnz .LBB12_328
.LBB12_327:                             ;   in Loop: Header=BB12_304 Depth=1
	global_load_dwordx2 v[12:13], v26, s[10:11]
	s_add_i32 s14, s15, -8
.LBB12_328:                             ;   in Loop: Header=BB12_304 Depth=1
	s_add_u32 s10, s0, 8
	s_addc_u32 s11, s1, 0
	s_cmp_gt_u32 s14, 7
	s_cbranch_scc1 .LBB12_332
; %bb.329:                              ;   in Loop: Header=BB12_304 Depth=1
	s_cmp_eq_u32 s14, 0
	s_cbranch_scc1 .LBB12_333
; %bb.330:                              ;   in Loop: Header=BB12_304 Depth=1
	v_mov_b32_e32 v14, 0
	s_mov_b64 s[10:11], 0
	v_mov_b32_e32 v15, 0
	s_mov_b64 s[12:13], 0
.LBB12_331:                             ;   Parent Loop BB12_304 Depth=1
                                        ; =>  This Inner Loop Header: Depth=2
	s_add_u32 s16, s0, s12
	s_addc_u32 s17, s1, s13
	global_load_ubyte v6, v26, s[16:17]
	s_add_u32 s12, s12, 1
	s_addc_u32 s13, s13, 0
	s_waitcnt vmcnt(0)
	v_and_b32_e32 v25, 0xffff, v6
	v_lshlrev_b64 v[6:7], s10, v[25:26]
	s_add_u32 s10, s10, 8
	s_addc_u32 s11, s11, 0
	v_or_b32_e32 v14, v6, v14
	s_cmp_lg_u32 s14, s12
	v_or_b32_e32 v15, v7, v15
	s_cbranch_scc1 .LBB12_331
	s_branch .LBB12_334
.LBB12_332:                             ;   in Loop: Header=BB12_304 Depth=1
                                        ; implicit-def: $vgpr14_vgpr15
	s_mov_b32 s15, 0
	s_branch .LBB12_335
.LBB12_333:                             ;   in Loop: Header=BB12_304 Depth=1
	v_mov_b32_e32 v14, 0
	v_mov_b32_e32 v15, 0
.LBB12_334:                             ;   in Loop: Header=BB12_304 Depth=1
	s_mov_b64 s[10:11], s[0:1]
	s_mov_b32 s15, 0
	s_cbranch_execnz .LBB12_336
.LBB12_335:                             ;   in Loop: Header=BB12_304 Depth=1
	global_load_dwordx2 v[14:15], v26, s[0:1]
	s_add_i32 s15, s14, -8
.LBB12_336:                             ;   in Loop: Header=BB12_304 Depth=1
	s_add_u32 s0, s10, 8
	s_addc_u32 s1, s11, 0
	s_cmp_gt_u32 s15, 7
	s_cbranch_scc1 .LBB12_340
; %bb.337:                              ;   in Loop: Header=BB12_304 Depth=1
	s_cmp_eq_u32 s15, 0
	s_cbranch_scc1 .LBB12_341
; %bb.338:                              ;   in Loop: Header=BB12_304 Depth=1
	v_mov_b32_e32 v16, 0
	s_mov_b64 s[0:1], 0
	v_mov_b32_e32 v17, 0
	s_mov_b64 s[12:13], 0
.LBB12_339:                             ;   Parent Loop BB12_304 Depth=1
                                        ; =>  This Inner Loop Header: Depth=2
	s_add_u32 s16, s10, s12
	s_addc_u32 s17, s11, s13
	global_load_ubyte v6, v26, s[16:17]
	s_add_u32 s12, s12, 1
	s_addc_u32 s13, s13, 0
	s_waitcnt vmcnt(0)
	v_and_b32_e32 v25, 0xffff, v6
	v_lshlrev_b64 v[6:7], s0, v[25:26]
	s_add_u32 s0, s0, 8
	s_addc_u32 s1, s1, 0
	v_or_b32_e32 v16, v6, v16
	s_cmp_lg_u32 s15, s12
	v_or_b32_e32 v17, v7, v17
	s_cbranch_scc1 .LBB12_339
	s_branch .LBB12_342
.LBB12_340:                             ;   in Loop: Header=BB12_304 Depth=1
	s_mov_b32 s14, 0
	s_branch .LBB12_343
.LBB12_341:                             ;   in Loop: Header=BB12_304 Depth=1
	v_mov_b32_e32 v16, 0
	v_mov_b32_e32 v17, 0
.LBB12_342:                             ;   in Loop: Header=BB12_304 Depth=1
	s_mov_b64 s[0:1], s[10:11]
	s_mov_b32 s14, 0
	s_cbranch_execnz .LBB12_344
.LBB12_343:                             ;   in Loop: Header=BB12_304 Depth=1
	global_load_dwordx2 v[16:17], v26, s[10:11]
	s_add_i32 s14, s15, -8
.LBB12_344:                             ;   in Loop: Header=BB12_304 Depth=1
	s_add_u32 s10, s0, 8
	s_addc_u32 s11, s1, 0
	s_cmp_gt_u32 s14, 7
	s_cbranch_scc1 .LBB12_348
; %bb.345:                              ;   in Loop: Header=BB12_304 Depth=1
	s_cmp_eq_u32 s14, 0
	s_cbranch_scc1 .LBB12_349
; %bb.346:                              ;   in Loop: Header=BB12_304 Depth=1
	v_mov_b32_e32 v18, 0
	s_mov_b64 s[10:11], 0
	v_mov_b32_e32 v19, 0
	s_mov_b64 s[12:13], 0
.LBB12_347:                             ;   Parent Loop BB12_304 Depth=1
                                        ; =>  This Inner Loop Header: Depth=2
	s_add_u32 s16, s0, s12
	s_addc_u32 s17, s1, s13
	global_load_ubyte v6, v26, s[16:17]
	s_add_u32 s12, s12, 1
	s_addc_u32 s13, s13, 0
	s_waitcnt vmcnt(0)
	v_and_b32_e32 v25, 0xffff, v6
	v_lshlrev_b64 v[6:7], s10, v[25:26]
	s_add_u32 s10, s10, 8
	s_addc_u32 s11, s11, 0
	v_or_b32_e32 v18, v6, v18
	s_cmp_lg_u32 s14, s12
	v_or_b32_e32 v19, v7, v19
	s_cbranch_scc1 .LBB12_347
	s_branch .LBB12_350
.LBB12_348:                             ;   in Loop: Header=BB12_304 Depth=1
                                        ; implicit-def: $vgpr18_vgpr19
	s_mov_b32 s15, 0
	s_branch .LBB12_351
.LBB12_349:                             ;   in Loop: Header=BB12_304 Depth=1
	v_mov_b32_e32 v18, 0
	v_mov_b32_e32 v19, 0
.LBB12_350:                             ;   in Loop: Header=BB12_304 Depth=1
	s_mov_b64 s[10:11], s[0:1]
	s_mov_b32 s15, 0
	s_cbranch_execnz .LBB12_352
.LBB12_351:                             ;   in Loop: Header=BB12_304 Depth=1
	global_load_dwordx2 v[18:19], v26, s[0:1]
	s_add_i32 s15, s14, -8
.LBB12_352:                             ;   in Loop: Header=BB12_304 Depth=1
	s_cmp_gt_u32 s15, 7
	s_cbranch_scc1 .LBB12_356
; %bb.353:                              ;   in Loop: Header=BB12_304 Depth=1
	s_cmp_eq_u32 s15, 0
	s_cbranch_scc1 .LBB12_357
; %bb.354:                              ;   in Loop: Header=BB12_304 Depth=1
	v_mov_b32_e32 v20, 0
	s_mov_b64 s[0:1], 0
	v_mov_b32_e32 v21, 0
	s_mov_b64 s[12:13], s[10:11]
.LBB12_355:                             ;   Parent Loop BB12_304 Depth=1
                                        ; =>  This Inner Loop Header: Depth=2
	global_load_ubyte v6, v26, s[12:13]
	s_add_i32 s15, s15, -1
	s_waitcnt vmcnt(0)
	v_and_b32_e32 v25, 0xffff, v6
	v_lshlrev_b64 v[6:7], s0, v[25:26]
	s_add_u32 s0, s0, 8
	s_addc_u32 s1, s1, 0
	s_add_u32 s12, s12, 1
	s_addc_u32 s13, s13, 0
	v_or_b32_e32 v20, v6, v20
	s_cmp_lg_u32 s15, 0
	v_or_b32_e32 v21, v7, v21
	s_cbranch_scc1 .LBB12_355
	s_branch .LBB12_358
.LBB12_356:                             ;   in Loop: Header=BB12_304 Depth=1
	s_branch .LBB12_359
.LBB12_357:                             ;   in Loop: Header=BB12_304 Depth=1
	v_mov_b32_e32 v20, 0
	v_mov_b32_e32 v21, 0
.LBB12_358:                             ;   in Loop: Header=BB12_304 Depth=1
	s_cbranch_execnz .LBB12_360
.LBB12_359:                             ;   in Loop: Header=BB12_304 Depth=1
	global_load_dwordx2 v[20:21], v26, s[10:11]
.LBB12_360:                             ;   in Loop: Header=BB12_304 Depth=1
	v_readfirstlane_b32 s0, v32
	v_mov_b32_e32 v6, 0
	v_mov_b32_e32 v7, 0
	v_cmp_eq_u32_e64 s[0:1], s0, v32
	s_and_saveexec_b64 s[10:11], s[0:1]
	s_cbranch_execz .LBB12_366
; %bb.361:                              ;   in Loop: Header=BB12_304 Depth=1
	global_load_dwordx2 v[24:25], v26, s[2:3] offset:24 glc
	s_waitcnt vmcnt(0)
	buffer_wbinvl1_vol
	global_load_dwordx2 v[6:7], v26, s[2:3] offset:40
	global_load_dwordx2 v[22:23], v26, s[2:3]
	s_waitcnt vmcnt(1)
	v_and_b32_e32 v6, v6, v24
	v_and_b32_e32 v7, v7, v25
	v_mul_lo_u32 v7, v7, 24
	v_mul_hi_u32 v27, v6, 24
	v_mul_lo_u32 v6, v6, 24
	v_add_u32_e32 v7, v27, v7
	s_waitcnt vmcnt(0)
	v_add_co_u32_e32 v6, vcc, v22, v6
	v_addc_co_u32_e32 v7, vcc, v23, v7, vcc
	global_load_dwordx2 v[22:23], v[6:7], off glc
	s_waitcnt vmcnt(0)
	global_atomic_cmpswap_x2 v[6:7], v26, v[22:25], s[2:3] offset:24 glc
	s_waitcnt vmcnt(0)
	buffer_wbinvl1_vol
	v_cmp_ne_u64_e32 vcc, v[6:7], v[24:25]
	s_and_saveexec_b64 s[12:13], vcc
	s_cbranch_execz .LBB12_365
; %bb.362:                              ;   in Loop: Header=BB12_304 Depth=1
	s_mov_b64 s[14:15], 0
.LBB12_363:                             ;   Parent Loop BB12_304 Depth=1
                                        ; =>  This Inner Loop Header: Depth=2
	s_sleep 1
	global_load_dwordx2 v[22:23], v26, s[2:3] offset:40
	global_load_dwordx2 v[27:28], v26, s[2:3]
	v_mov_b32_e32 v25, v7
	v_mov_b32_e32 v24, v6
	s_waitcnt vmcnt(1)
	v_and_b32_e32 v6, v22, v24
	s_waitcnt vmcnt(0)
	v_mad_u64_u32 v[6:7], s[16:17], v6, 24, v[27:28]
	v_and_b32_e32 v22, v23, v25
	v_mad_u64_u32 v[22:23], s[16:17], v22, 24, v[7:8]
	v_mov_b32_e32 v7, v22
	global_load_dwordx2 v[22:23], v[6:7], off glc
	s_waitcnt vmcnt(0)
	global_atomic_cmpswap_x2 v[6:7], v26, v[22:25], s[2:3] offset:24 glc
	s_waitcnt vmcnt(0)
	buffer_wbinvl1_vol
	v_cmp_eq_u64_e32 vcc, v[6:7], v[24:25]
	s_or_b64 s[14:15], vcc, s[14:15]
	s_andn2_b64 exec, exec, s[14:15]
	s_cbranch_execnz .LBB12_363
; %bb.364:                              ;   in Loop: Header=BB12_304 Depth=1
	s_or_b64 exec, exec, s[14:15]
.LBB12_365:                             ;   in Loop: Header=BB12_304 Depth=1
	s_or_b64 exec, exec, s[12:13]
.LBB12_366:                             ;   in Loop: Header=BB12_304 Depth=1
	s_or_b64 exec, exec, s[10:11]
	global_load_dwordx2 v[27:28], v26, s[2:3] offset:40
	global_load_dwordx4 v[22:25], v26, s[2:3]
	v_readfirstlane_b32 s11, v7
	v_readfirstlane_b32 s10, v6
	s_mov_b64 s[12:13], exec
	s_waitcnt vmcnt(1)
	v_readfirstlane_b32 s14, v27
	v_readfirstlane_b32 s15, v28
	s_and_b64 s[14:15], s[14:15], s[10:11]
	s_mul_i32 s16, s15, 24
	s_mul_hi_u32 s17, s14, 24
	s_mul_i32 s18, s14, 24
	s_add_i32 s16, s17, s16
	v_mov_b32_e32 v6, s16
	s_waitcnt vmcnt(0)
	v_add_co_u32_e32 v27, vcc, s18, v22
	v_addc_co_u32_e32 v28, vcc, v23, v6, vcc
	s_and_saveexec_b64 s[16:17], s[0:1]
	s_cbranch_execz .LBB12_368
; %bb.367:                              ;   in Loop: Header=BB12_304 Depth=1
	v_mov_b32_e32 v6, s12
	v_mov_b32_e32 v7, s13
	global_store_dwordx4 v[27:28], v[6:9], off offset:8
.LBB12_368:                             ;   in Loop: Header=BB12_304 Depth=1
	s_or_b64 exec, exec, s[16:17]
	s_lshl_b64 s[12:13], s[14:15], 12
	v_mov_b32_e32 v6, s13
	v_add_co_u32_e32 v24, vcc, s12, v24
	v_addc_co_u32_e32 v30, vcc, v25, v6, vcc
	v_cmp_lt_u64_e64 vcc, s[6:7], 57
	s_lshl_b32 s12, s8, 2
	v_cndmask_b32_e32 v6, 0, v29, vcc
	s_add_i32 s12, s12, 28
	v_and_b32_e32 v2, 0xffffff1f, v2
	s_and_b32 s12, s12, 0x1e0
	v_or_b32_e32 v2, v2, v6
	v_or_b32_e32 v2, s12, v2
	v_readfirstlane_b32 s12, v24
	v_readfirstlane_b32 s13, v30
	s_nop 4
	global_store_dwordx4 v31, v[2:5], s[12:13]
	global_store_dwordx4 v31, v[10:13], s[12:13] offset:16
	global_store_dwordx4 v31, v[14:17], s[12:13] offset:32
	;; [unrolled: 1-line block ×3, first 2 shown]
	s_and_saveexec_b64 s[12:13], s[0:1]
	s_cbranch_execz .LBB12_376
; %bb.369:                              ;   in Loop: Header=BB12_304 Depth=1
	global_load_dwordx2 v[12:13], v26, s[2:3] offset:32 glc
	global_load_dwordx2 v[2:3], v26, s[2:3] offset:40
	v_mov_b32_e32 v10, s10
	v_mov_b32_e32 v11, s11
	s_waitcnt vmcnt(0)
	v_readfirstlane_b32 s14, v2
	v_readfirstlane_b32 s15, v3
	s_and_b64 s[14:15], s[14:15], s[10:11]
	s_mul_i32 s15, s15, 24
	s_mul_hi_u32 s16, s14, 24
	s_mul_i32 s14, s14, 24
	s_add_i32 s15, s16, s15
	v_mov_b32_e32 v2, s15
	v_add_co_u32_e32 v6, vcc, s14, v22
	v_addc_co_u32_e32 v7, vcc, v23, v2, vcc
	global_store_dwordx2 v[6:7], v[12:13], off
	s_waitcnt vmcnt(0)
	global_atomic_cmpswap_x2 v[4:5], v26, v[10:13], s[2:3] offset:32 glc
	s_waitcnt vmcnt(0)
	v_cmp_ne_u64_e32 vcc, v[4:5], v[12:13]
	s_and_saveexec_b64 s[14:15], vcc
	s_cbranch_execz .LBB12_372
; %bb.370:                              ;   in Loop: Header=BB12_304 Depth=1
	s_mov_b64 s[16:17], 0
.LBB12_371:                             ;   Parent Loop BB12_304 Depth=1
                                        ; =>  This Inner Loop Header: Depth=2
	s_sleep 1
	global_store_dwordx2 v[6:7], v[4:5], off
	v_mov_b32_e32 v2, s10
	v_mov_b32_e32 v3, s11
	s_waitcnt vmcnt(0)
	global_atomic_cmpswap_x2 v[2:3], v26, v[2:5], s[2:3] offset:32 glc
	s_waitcnt vmcnt(0)
	v_cmp_eq_u64_e32 vcc, v[2:3], v[4:5]
	v_mov_b32_e32 v5, v3
	s_or_b64 s[16:17], vcc, s[16:17]
	v_mov_b32_e32 v4, v2
	s_andn2_b64 exec, exec, s[16:17]
	s_cbranch_execnz .LBB12_371
.LBB12_372:                             ;   in Loop: Header=BB12_304 Depth=1
	s_or_b64 exec, exec, s[14:15]
	global_load_dwordx2 v[2:3], v26, s[2:3] offset:16
	s_mov_b64 s[16:17], exec
	v_mbcnt_lo_u32_b32 v4, s16, 0
	v_mbcnt_hi_u32_b32 v4, s17, v4
	v_cmp_eq_u32_e32 vcc, 0, v4
	s_and_saveexec_b64 s[14:15], vcc
	s_cbranch_execz .LBB12_374
; %bb.373:                              ;   in Loop: Header=BB12_304 Depth=1
	s_bcnt1_i32_b64 s16, s[16:17]
	v_mov_b32_e32 v25, s16
	s_waitcnt vmcnt(0)
	global_atomic_add_x2 v[2:3], v[25:26], off offset:8
.LBB12_374:                             ;   in Loop: Header=BB12_304 Depth=1
	s_or_b64 exec, exec, s[14:15]
	s_waitcnt vmcnt(0)
	global_load_dwordx2 v[4:5], v[2:3], off offset:16
	s_waitcnt vmcnt(0)
	v_cmp_eq_u64_e32 vcc, 0, v[4:5]
	s_cbranch_vccnz .LBB12_376
; %bb.375:                              ;   in Loop: Header=BB12_304 Depth=1
	global_load_dword v25, v[2:3], off offset:24
	s_waitcnt vmcnt(0)
	v_readfirstlane_b32 s14, v25
	s_and_b32 m0, s14, 0xffffff
	global_store_dwordx2 v[4:5], v[25:26], off
	s_sendmsg sendmsg(MSG_INTERRUPT)
.LBB12_376:                             ;   in Loop: Header=BB12_304 Depth=1
	s_or_b64 exec, exec, s[12:13]
	v_add_co_u32_e32 v2, vcc, v24, v31
	v_addc_co_u32_e32 v3, vcc, 0, v30, vcc
	s_branch .LBB12_380
.LBB12_377:                             ;   in Loop: Header=BB12_380 Depth=2
	s_or_b64 exec, exec, s[12:13]
	v_readfirstlane_b32 s12, v4
	s_cmp_eq_u32 s12, 0
	s_cbranch_scc1 .LBB12_379
; %bb.378:                              ;   in Loop: Header=BB12_380 Depth=2
	s_sleep 1
	s_cbranch_execnz .LBB12_380
	s_branch .LBB12_382
.LBB12_379:                             ;   in Loop: Header=BB12_304 Depth=1
	s_branch .LBB12_382
.LBB12_380:                             ;   Parent Loop BB12_304 Depth=1
                                        ; =>  This Inner Loop Header: Depth=2
	v_mov_b32_e32 v4, 1
	s_and_saveexec_b64 s[12:13], s[0:1]
	s_cbranch_execz .LBB12_377
; %bb.381:                              ;   in Loop: Header=BB12_380 Depth=2
	global_load_dword v4, v[27:28], off offset:20 glc
	s_waitcnt vmcnt(0)
	buffer_wbinvl1_vol
	v_and_b32_e32 v4, 1, v4
	s_branch .LBB12_377
.LBB12_382:                             ;   in Loop: Header=BB12_304 Depth=1
	global_load_dwordx2 v[2:3], v[2:3], off
	s_and_saveexec_b64 s[12:13], s[0:1]
	s_cbranch_execz .LBB12_303
; %bb.383:                              ;   in Loop: Header=BB12_304 Depth=1
	global_load_dwordx2 v[4:5], v26, s[2:3] offset:40
	global_load_dwordx2 v[14:15], v26, s[2:3] offset:24 glc
	global_load_dwordx2 v[6:7], v26, s[2:3]
	s_waitcnt vmcnt(2)
	v_readfirstlane_b32 s14, v4
	v_readfirstlane_b32 s15, v5
	s_add_u32 s16, s14, 1
	s_addc_u32 s17, s15, 0
	s_add_u32 s0, s16, s10
	s_addc_u32 s1, s17, s11
	s_cmp_eq_u64 s[0:1], 0
	s_cselect_b32 s1, s17, s1
	s_cselect_b32 s0, s16, s0
	s_and_b64 s[10:11], s[0:1], s[14:15]
	s_mul_i32 s11, s11, 24
	s_mul_hi_u32 s14, s10, 24
	s_mul_i32 s10, s10, 24
	s_add_i32 s11, s14, s11
	v_mov_b32_e32 v4, s11
	s_waitcnt vmcnt(0)
	v_add_co_u32_e32 v10, vcc, s10, v6
	v_addc_co_u32_e32 v11, vcc, v7, v4, vcc
	v_mov_b32_e32 v12, s0
	global_store_dwordx2 v[10:11], v[14:15], off
	v_mov_b32_e32 v13, s1
	s_waitcnt vmcnt(0)
	global_atomic_cmpswap_x2 v[6:7], v26, v[12:15], s[2:3] offset:24 glc
	s_waitcnt vmcnt(0)
	v_cmp_ne_u64_e32 vcc, v[6:7], v[14:15]
	s_and_b64 exec, exec, vcc
	s_cbranch_execz .LBB12_303
; %bb.384:                              ;   in Loop: Header=BB12_304 Depth=1
	s_mov_b64 s[10:11], 0
.LBB12_385:                             ;   Parent Loop BB12_304 Depth=1
                                        ; =>  This Inner Loop Header: Depth=2
	s_sleep 1
	global_store_dwordx2 v[10:11], v[6:7], off
	v_mov_b32_e32 v4, s0
	v_mov_b32_e32 v5, s1
	s_waitcnt vmcnt(0)
	global_atomic_cmpswap_x2 v[4:5], v26, v[4:7], s[2:3] offset:24 glc
	s_waitcnt vmcnt(0)
	v_cmp_eq_u64_e32 vcc, v[4:5], v[6:7]
	v_mov_b32_e32 v7, v5
	s_or_b64 s[10:11], vcc, s[10:11]
	v_mov_b32_e32 v6, v4
	s_andn2_b64 exec, exec, s[10:11]
	s_cbranch_execnz .LBB12_385
	s_branch .LBB12_303
.LBB12_386:
	s_mov_b64 s[0:1], -1
                                        ; implicit-def: $vgpr2_vgpr3
	s_branch .LBB12_388
.LBB12_387:
	s_mov_b64 s[0:1], 0
.LBB12_388:
	s_and_b64 vcc, exec, s[0:1]
	s_cbranch_vccz .LBB12_415
; %bb.389:
	v_readfirstlane_b32 s0, v32
	v_mov_b32_e32 v8, 0
	v_mov_b32_e32 v9, 0
	v_cmp_eq_u32_e64 s[0:1], s0, v32
	s_and_saveexec_b64 s[4:5], s[0:1]
	s_cbranch_execz .LBB12_395
; %bb.390:
	s_waitcnt vmcnt(0)
	v_mov_b32_e32 v2, 0
	global_load_dwordx2 v[5:6], v2, s[2:3] offset:24 glc
	s_waitcnt vmcnt(0)
	buffer_wbinvl1_vol
	global_load_dwordx2 v[3:4], v2, s[2:3] offset:40
	global_load_dwordx2 v[7:8], v2, s[2:3]
	s_waitcnt vmcnt(1)
	v_and_b32_e32 v3, v3, v5
	v_and_b32_e32 v4, v4, v6
	v_mul_lo_u32 v4, v4, 24
	v_mul_hi_u32 v9, v3, 24
	v_mul_lo_u32 v3, v3, 24
	v_add_u32_e32 v4, v9, v4
	s_waitcnt vmcnt(0)
	v_add_co_u32_e32 v3, vcc, v7, v3
	v_addc_co_u32_e32 v4, vcc, v8, v4, vcc
	global_load_dwordx2 v[3:4], v[3:4], off glc
	s_waitcnt vmcnt(0)
	global_atomic_cmpswap_x2 v[8:9], v2, v[3:6], s[2:3] offset:24 glc
	s_waitcnt vmcnt(0)
	buffer_wbinvl1_vol
	v_cmp_ne_u64_e32 vcc, v[8:9], v[5:6]
	s_and_saveexec_b64 s[6:7], vcc
	s_cbranch_execz .LBB12_394
; %bb.391:
	s_mov_b64 s[8:9], 0
.LBB12_392:                             ; =>This Inner Loop Header: Depth=1
	s_sleep 1
	global_load_dwordx2 v[3:4], v2, s[2:3] offset:40
	global_load_dwordx2 v[10:11], v2, s[2:3]
	v_mov_b32_e32 v5, v8
	v_mov_b32_e32 v6, v9
	s_waitcnt vmcnt(1)
	v_and_b32_e32 v3, v3, v5
	s_waitcnt vmcnt(0)
	v_mad_u64_u32 v[7:8], s[10:11], v3, 24, v[10:11]
	v_and_b32_e32 v4, v4, v6
	v_mov_b32_e32 v3, v8
	v_mad_u64_u32 v[3:4], s[10:11], v4, 24, v[3:4]
	v_mov_b32_e32 v8, v3
	global_load_dwordx2 v[3:4], v[7:8], off glc
	s_waitcnt vmcnt(0)
	global_atomic_cmpswap_x2 v[8:9], v2, v[3:6], s[2:3] offset:24 glc
	s_waitcnt vmcnt(0)
	buffer_wbinvl1_vol
	v_cmp_eq_u64_e32 vcc, v[8:9], v[5:6]
	s_or_b64 s[8:9], vcc, s[8:9]
	s_andn2_b64 exec, exec, s[8:9]
	s_cbranch_execnz .LBB12_392
; %bb.393:
	s_or_b64 exec, exec, s[8:9]
.LBB12_394:
	s_or_b64 exec, exec, s[6:7]
.LBB12_395:
	s_or_b64 exec, exec, s[4:5]
	s_waitcnt vmcnt(0)
	v_mov_b32_e32 v2, 0
	global_load_dwordx2 v[10:11], v2, s[2:3] offset:40
	global_load_dwordx4 v[4:7], v2, s[2:3]
	v_readfirstlane_b32 s5, v9
	v_readfirstlane_b32 s4, v8
	s_mov_b64 s[6:7], exec
	s_waitcnt vmcnt(1)
	v_readfirstlane_b32 s8, v10
	v_readfirstlane_b32 s9, v11
	s_and_b64 s[8:9], s[8:9], s[4:5]
	s_mul_i32 s10, s9, 24
	s_mul_hi_u32 s11, s8, 24
	s_mul_i32 s12, s8, 24
	s_add_i32 s10, s11, s10
	v_mov_b32_e32 v3, s10
	s_waitcnt vmcnt(0)
	v_add_co_u32_e32 v8, vcc, s12, v4
	v_addc_co_u32_e32 v9, vcc, v5, v3, vcc
	s_and_saveexec_b64 s[10:11], s[0:1]
	s_cbranch_execz .LBB12_397
; %bb.396:
	v_mov_b32_e32 v11, s7
	v_mov_b32_e32 v10, s6
	;; [unrolled: 1-line block ×4, first 2 shown]
	global_store_dwordx4 v[8:9], v[10:13], off offset:8
.LBB12_397:
	s_or_b64 exec, exec, s[10:11]
	s_lshl_b64 s[6:7], s[8:9], 12
	v_mov_b32_e32 v3, s7
	v_add_co_u32_e32 v10, vcc, s6, v6
	v_addc_co_u32_e32 v11, vcc, v7, v3, vcc
	s_movk_i32 s6, 0xff1f
	v_and_or_b32 v0, v0, s6, 32
	s_mov_b32 s8, 0
	v_mov_b32_e32 v3, v2
	v_readfirstlane_b32 s6, v10
	v_readfirstlane_b32 s7, v11
	v_add_co_u32_e32 v6, vcc, v10, v31
	s_mov_b32 s9, s8
	s_mov_b32 s10, s8
	;; [unrolled: 1-line block ×3, first 2 shown]
	s_nop 0
	global_store_dwordx4 v31, v[0:3], s[6:7]
	v_addc_co_u32_e32 v7, vcc, 0, v11, vcc
	v_mov_b32_e32 v0, s8
	v_mov_b32_e32 v1, s9
	;; [unrolled: 1-line block ×4, first 2 shown]
	global_store_dwordx4 v31, v[0:3], s[6:7] offset:16
	global_store_dwordx4 v31, v[0:3], s[6:7] offset:32
	;; [unrolled: 1-line block ×3, first 2 shown]
	s_and_saveexec_b64 s[6:7], s[0:1]
	s_cbranch_execz .LBB12_405
; %bb.398:
	v_mov_b32_e32 v10, 0
	global_load_dwordx2 v[13:14], v10, s[2:3] offset:32 glc
	global_load_dwordx2 v[0:1], v10, s[2:3] offset:40
	v_mov_b32_e32 v11, s4
	v_mov_b32_e32 v12, s5
	s_waitcnt vmcnt(0)
	v_readfirstlane_b32 s8, v0
	v_readfirstlane_b32 s9, v1
	s_and_b64 s[8:9], s[8:9], s[4:5]
	s_mul_i32 s9, s9, 24
	s_mul_hi_u32 s10, s8, 24
	s_mul_i32 s8, s8, 24
	s_add_i32 s9, s10, s9
	v_mov_b32_e32 v0, s9
	v_add_co_u32_e32 v4, vcc, s8, v4
	v_addc_co_u32_e32 v5, vcc, v5, v0, vcc
	global_store_dwordx2 v[4:5], v[13:14], off
	s_waitcnt vmcnt(0)
	global_atomic_cmpswap_x2 v[2:3], v10, v[11:14], s[2:3] offset:32 glc
	s_waitcnt vmcnt(0)
	v_cmp_ne_u64_e32 vcc, v[2:3], v[13:14]
	s_and_saveexec_b64 s[8:9], vcc
	s_cbranch_execz .LBB12_401
; %bb.399:
	s_mov_b64 s[10:11], 0
.LBB12_400:                             ; =>This Inner Loop Header: Depth=1
	s_sleep 1
	global_store_dwordx2 v[4:5], v[2:3], off
	v_mov_b32_e32 v0, s4
	v_mov_b32_e32 v1, s5
	s_waitcnt vmcnt(0)
	global_atomic_cmpswap_x2 v[0:1], v10, v[0:3], s[2:3] offset:32 glc
	s_waitcnt vmcnt(0)
	v_cmp_eq_u64_e32 vcc, v[0:1], v[2:3]
	v_mov_b32_e32 v3, v1
	s_or_b64 s[10:11], vcc, s[10:11]
	v_mov_b32_e32 v2, v0
	s_andn2_b64 exec, exec, s[10:11]
	s_cbranch_execnz .LBB12_400
.LBB12_401:
	s_or_b64 exec, exec, s[8:9]
	v_mov_b32_e32 v3, 0
	global_load_dwordx2 v[0:1], v3, s[2:3] offset:16
	s_mov_b64 s[8:9], exec
	v_mbcnt_lo_u32_b32 v2, s8, 0
	v_mbcnt_hi_u32_b32 v2, s9, v2
	v_cmp_eq_u32_e32 vcc, 0, v2
	s_and_saveexec_b64 s[10:11], vcc
	s_cbranch_execz .LBB12_403
; %bb.402:
	s_bcnt1_i32_b64 s8, s[8:9]
	v_mov_b32_e32 v2, s8
	s_waitcnt vmcnt(0)
	global_atomic_add_x2 v[0:1], v[2:3], off offset:8
.LBB12_403:
	s_or_b64 exec, exec, s[10:11]
	s_waitcnt vmcnt(0)
	global_load_dwordx2 v[2:3], v[0:1], off offset:16
	s_waitcnt vmcnt(0)
	v_cmp_eq_u64_e32 vcc, 0, v[2:3]
	s_cbranch_vccnz .LBB12_405
; %bb.404:
	global_load_dword v0, v[0:1], off offset:24
	v_mov_b32_e32 v1, 0
	s_waitcnt vmcnt(0)
	v_readfirstlane_b32 s8, v0
	s_and_b32 m0, s8, 0xffffff
	global_store_dwordx2 v[2:3], v[0:1], off
	s_sendmsg sendmsg(MSG_INTERRUPT)
.LBB12_405:
	s_or_b64 exec, exec, s[6:7]
	s_branch .LBB12_409
.LBB12_406:                             ;   in Loop: Header=BB12_409 Depth=1
	s_or_b64 exec, exec, s[6:7]
	v_readfirstlane_b32 s6, v0
	s_cmp_eq_u32 s6, 0
	s_cbranch_scc1 .LBB12_408
; %bb.407:                              ;   in Loop: Header=BB12_409 Depth=1
	s_sleep 1
	s_cbranch_execnz .LBB12_409
	s_branch .LBB12_411
.LBB12_408:
	s_branch .LBB12_411
.LBB12_409:                             ; =>This Inner Loop Header: Depth=1
	v_mov_b32_e32 v0, 1
	s_and_saveexec_b64 s[6:7], s[0:1]
	s_cbranch_execz .LBB12_406
; %bb.410:                              ;   in Loop: Header=BB12_409 Depth=1
	global_load_dword v0, v[8:9], off offset:20 glc
	s_waitcnt vmcnt(0)
	buffer_wbinvl1_vol
	v_and_b32_e32 v0, 1, v0
	s_branch .LBB12_406
.LBB12_411:
	global_load_dwordx2 v[2:3], v[6:7], off
	s_and_saveexec_b64 s[6:7], s[0:1]
	s_cbranch_execz .LBB12_414
; %bb.412:
	v_mov_b32_e32 v8, 0
	global_load_dwordx2 v[0:1], v8, s[2:3] offset:40
	global_load_dwordx2 v[11:12], v8, s[2:3] offset:24 glc
	global_load_dwordx2 v[4:5], v8, s[2:3]
	s_waitcnt vmcnt(2)
	v_readfirstlane_b32 s8, v0
	v_readfirstlane_b32 s9, v1
	s_add_u32 s10, s8, 1
	s_addc_u32 s11, s9, 0
	s_add_u32 s0, s10, s4
	s_addc_u32 s1, s11, s5
	s_cmp_eq_u64 s[0:1], 0
	s_cselect_b32 s1, s11, s1
	s_cselect_b32 s0, s10, s0
	s_and_b64 s[4:5], s[0:1], s[8:9]
	s_mul_i32 s5, s5, 24
	s_mul_hi_u32 s8, s4, 24
	s_mul_i32 s4, s4, 24
	s_add_i32 s5, s8, s5
	v_mov_b32_e32 v1, s5
	s_waitcnt vmcnt(0)
	v_add_co_u32_e32 v0, vcc, s4, v4
	v_addc_co_u32_e32 v1, vcc, v5, v1, vcc
	v_mov_b32_e32 v9, s0
	global_store_dwordx2 v[0:1], v[11:12], off
	v_mov_b32_e32 v10, s1
	s_waitcnt vmcnt(0)
	global_atomic_cmpswap_x2 v[6:7], v8, v[9:12], s[2:3] offset:24 glc
	s_mov_b64 s[4:5], 0
	s_waitcnt vmcnt(0)
	v_cmp_ne_u64_e32 vcc, v[6:7], v[11:12]
	s_and_b64 exec, exec, vcc
	s_cbranch_execz .LBB12_414
.LBB12_413:                             ; =>This Inner Loop Header: Depth=1
	s_sleep 1
	global_store_dwordx2 v[0:1], v[6:7], off
	v_mov_b32_e32 v4, s0
	v_mov_b32_e32 v5, s1
	s_waitcnt vmcnt(0)
	global_atomic_cmpswap_x2 v[4:5], v8, v[4:7], s[2:3] offset:24 glc
	s_waitcnt vmcnt(0)
	v_cmp_eq_u64_e32 vcc, v[4:5], v[6:7]
	v_mov_b32_e32 v7, v5
	s_or_b64 s[4:5], vcc, s[4:5]
	v_mov_b32_e32 v6, v4
	s_andn2_b64 exec, exec, s[4:5]
	s_cbranch_execnz .LBB12_413
.LBB12_414:
	s_or_b64 exec, exec, s[6:7]
.LBB12_415:
	v_readfirstlane_b32 s0, v32
	s_waitcnt vmcnt(0)
	v_mov_b32_e32 v0, 0
	v_mov_b32_e32 v1, 0
	v_cmp_eq_u32_e64 s[0:1], s0, v32
	s_and_saveexec_b64 s[4:5], s[0:1]
	s_cbranch_execz .LBB12_421
; %bb.416:
	v_mov_b32_e32 v4, 0
	global_load_dwordx2 v[7:8], v4, s[2:3] offset:24 glc
	s_waitcnt vmcnt(0)
	buffer_wbinvl1_vol
	global_load_dwordx2 v[0:1], v4, s[2:3] offset:40
	global_load_dwordx2 v[5:6], v4, s[2:3]
	s_waitcnt vmcnt(1)
	v_and_b32_e32 v0, v0, v7
	v_and_b32_e32 v1, v1, v8
	v_mul_lo_u32 v1, v1, 24
	v_mul_hi_u32 v9, v0, 24
	v_mul_lo_u32 v0, v0, 24
	v_add_u32_e32 v1, v9, v1
	s_waitcnt vmcnt(0)
	v_add_co_u32_e32 v0, vcc, v5, v0
	v_addc_co_u32_e32 v1, vcc, v6, v1, vcc
	global_load_dwordx2 v[5:6], v[0:1], off glc
	s_waitcnt vmcnt(0)
	global_atomic_cmpswap_x2 v[0:1], v4, v[5:8], s[2:3] offset:24 glc
	s_waitcnt vmcnt(0)
	buffer_wbinvl1_vol
	v_cmp_ne_u64_e32 vcc, v[0:1], v[7:8]
	s_and_saveexec_b64 s[6:7], vcc
	s_cbranch_execz .LBB12_420
; %bb.417:
	s_mov_b64 s[8:9], 0
.LBB12_418:                             ; =>This Inner Loop Header: Depth=1
	s_sleep 1
	global_load_dwordx2 v[5:6], v4, s[2:3] offset:40
	global_load_dwordx2 v[9:10], v4, s[2:3]
	v_mov_b32_e32 v8, v1
	v_mov_b32_e32 v7, v0
	s_waitcnt vmcnt(1)
	v_and_b32_e32 v0, v5, v7
	s_waitcnt vmcnt(0)
	v_mad_u64_u32 v[0:1], s[10:11], v0, 24, v[9:10]
	v_and_b32_e32 v5, v6, v8
	v_mad_u64_u32 v[5:6], s[10:11], v5, 24, v[1:2]
	v_mov_b32_e32 v1, v5
	global_load_dwordx2 v[5:6], v[0:1], off glc
	s_waitcnt vmcnt(0)
	global_atomic_cmpswap_x2 v[0:1], v4, v[5:8], s[2:3] offset:24 glc
	s_waitcnt vmcnt(0)
	buffer_wbinvl1_vol
	v_cmp_eq_u64_e32 vcc, v[0:1], v[7:8]
	s_or_b64 s[8:9], vcc, s[8:9]
	s_andn2_b64 exec, exec, s[8:9]
	s_cbranch_execnz .LBB12_418
; %bb.419:
	s_or_b64 exec, exec, s[8:9]
.LBB12_420:
	s_or_b64 exec, exec, s[6:7]
.LBB12_421:
	s_or_b64 exec, exec, s[4:5]
	v_mov_b32_e32 v5, 0
	global_load_dwordx2 v[10:11], v5, s[2:3] offset:40
	global_load_dwordx4 v[6:9], v5, s[2:3]
	v_readfirstlane_b32 s5, v1
	v_readfirstlane_b32 s4, v0
	s_mov_b64 s[6:7], exec
	s_waitcnt vmcnt(1)
	v_readfirstlane_b32 s8, v10
	v_readfirstlane_b32 s9, v11
	s_and_b64 s[8:9], s[8:9], s[4:5]
	s_mul_i32 s10, s9, 24
	s_mul_hi_u32 s11, s8, 24
	s_mul_i32 s12, s8, 24
	s_add_i32 s10, s11, s10
	v_mov_b32_e32 v0, s10
	s_waitcnt vmcnt(0)
	v_add_co_u32_e32 v10, vcc, s12, v6
	v_addc_co_u32_e32 v11, vcc, v7, v0, vcc
	s_and_saveexec_b64 s[10:11], s[0:1]
	s_cbranch_execz .LBB12_423
; %bb.422:
	v_mov_b32_e32 v13, s7
	v_mov_b32_e32 v12, s6
	;; [unrolled: 1-line block ×4, first 2 shown]
	global_store_dwordx4 v[10:11], v[12:15], off offset:8
.LBB12_423:
	s_or_b64 exec, exec, s[10:11]
	s_lshl_b64 s[6:7], s[8:9], 12
	v_mov_b32_e32 v0, s7
	v_add_co_u32_e32 v1, vcc, s6, v8
	v_addc_co_u32_e32 v0, vcc, v9, v0, vcc
	s_movk_i32 s6, 0xff1d
	v_and_or_b32 v2, v2, s6, 34
	s_mov_b32 s8, 0
	v_mov_b32_e32 v4, 0x7c
	v_readfirstlane_b32 s6, v1
	v_readfirstlane_b32 s7, v0
	s_mov_b32 s9, s8
	s_mov_b32 s10, s8
	;; [unrolled: 1-line block ×3, first 2 shown]
	s_nop 1
	global_store_dwordx4 v31, v[2:5], s[6:7]
	v_mov_b32_e32 v0, s8
	v_mov_b32_e32 v1, s9
	;; [unrolled: 1-line block ×4, first 2 shown]
	global_store_dwordx4 v31, v[0:3], s[6:7] offset:16
	global_store_dwordx4 v31, v[0:3], s[6:7] offset:32
	;; [unrolled: 1-line block ×3, first 2 shown]
	s_and_saveexec_b64 s[6:7], s[0:1]
	s_cbranch_execz .LBB12_431
; %bb.424:
	v_mov_b32_e32 v8, 0
	global_load_dwordx2 v[14:15], v8, s[2:3] offset:32 glc
	global_load_dwordx2 v[0:1], v8, s[2:3] offset:40
	v_mov_b32_e32 v12, s4
	v_mov_b32_e32 v13, s5
	s_waitcnt vmcnt(0)
	v_readfirstlane_b32 s8, v0
	v_readfirstlane_b32 s9, v1
	s_and_b64 s[8:9], s[8:9], s[4:5]
	s_mul_i32 s9, s9, 24
	s_mul_hi_u32 s10, s8, 24
	s_mul_i32 s8, s8, 24
	s_add_i32 s9, s10, s9
	v_mov_b32_e32 v0, s9
	v_add_co_u32_e32 v4, vcc, s8, v6
	v_addc_co_u32_e32 v5, vcc, v7, v0, vcc
	global_store_dwordx2 v[4:5], v[14:15], off
	s_waitcnt vmcnt(0)
	global_atomic_cmpswap_x2 v[2:3], v8, v[12:15], s[2:3] offset:32 glc
	s_waitcnt vmcnt(0)
	v_cmp_ne_u64_e32 vcc, v[2:3], v[14:15]
	s_and_saveexec_b64 s[8:9], vcc
	s_cbranch_execz .LBB12_427
; %bb.425:
	s_mov_b64 s[10:11], 0
.LBB12_426:                             ; =>This Inner Loop Header: Depth=1
	s_sleep 1
	global_store_dwordx2 v[4:5], v[2:3], off
	v_mov_b32_e32 v0, s4
	v_mov_b32_e32 v1, s5
	s_waitcnt vmcnt(0)
	global_atomic_cmpswap_x2 v[0:1], v8, v[0:3], s[2:3] offset:32 glc
	s_waitcnt vmcnt(0)
	v_cmp_eq_u64_e32 vcc, v[0:1], v[2:3]
	v_mov_b32_e32 v3, v1
	s_or_b64 s[10:11], vcc, s[10:11]
	v_mov_b32_e32 v2, v0
	s_andn2_b64 exec, exec, s[10:11]
	s_cbranch_execnz .LBB12_426
.LBB12_427:
	s_or_b64 exec, exec, s[8:9]
	v_mov_b32_e32 v3, 0
	global_load_dwordx2 v[0:1], v3, s[2:3] offset:16
	s_mov_b64 s[8:9], exec
	v_mbcnt_lo_u32_b32 v2, s8, 0
	v_mbcnt_hi_u32_b32 v2, s9, v2
	v_cmp_eq_u32_e32 vcc, 0, v2
	s_and_saveexec_b64 s[10:11], vcc
	s_cbranch_execz .LBB12_429
; %bb.428:
	s_bcnt1_i32_b64 s8, s[8:9]
	v_mov_b32_e32 v2, s8
	s_waitcnt vmcnt(0)
	global_atomic_add_x2 v[0:1], v[2:3], off offset:8
.LBB12_429:
	s_or_b64 exec, exec, s[10:11]
	s_waitcnt vmcnt(0)
	global_load_dwordx2 v[2:3], v[0:1], off offset:16
	s_waitcnt vmcnt(0)
	v_cmp_eq_u64_e32 vcc, 0, v[2:3]
	s_cbranch_vccnz .LBB12_431
; %bb.430:
	global_load_dword v0, v[0:1], off offset:24
	v_mov_b32_e32 v1, 0
	s_waitcnt vmcnt(0)
	v_readfirstlane_b32 s8, v0
	s_and_b32 m0, s8, 0xffffff
	global_store_dwordx2 v[2:3], v[0:1], off
	s_sendmsg sendmsg(MSG_INTERRUPT)
.LBB12_431:
	s_or_b64 exec, exec, s[6:7]
	s_branch .LBB12_435
.LBB12_432:                             ;   in Loop: Header=BB12_435 Depth=1
	s_or_b64 exec, exec, s[6:7]
	v_readfirstlane_b32 s6, v0
	s_cmp_eq_u32 s6, 0
	s_cbranch_scc1 .LBB12_434
; %bb.433:                              ;   in Loop: Header=BB12_435 Depth=1
	s_sleep 1
	s_cbranch_execnz .LBB12_435
	s_branch .LBB12_437
.LBB12_434:
	s_branch .LBB12_437
.LBB12_435:                             ; =>This Inner Loop Header: Depth=1
	v_mov_b32_e32 v0, 1
	s_and_saveexec_b64 s[6:7], s[0:1]
	s_cbranch_execz .LBB12_432
; %bb.436:                              ;   in Loop: Header=BB12_435 Depth=1
	global_load_dword v0, v[10:11], off offset:20 glc
	s_waitcnt vmcnt(0)
	buffer_wbinvl1_vol
	v_and_b32_e32 v0, 1, v0
	s_branch .LBB12_432
.LBB12_437:
	s_and_saveexec_b64 s[6:7], s[0:1]
	s_cbranch_execz .LBB12_440
; %bb.438:
	v_mov_b32_e32 v6, 0
	global_load_dwordx2 v[0:1], v6, s[2:3] offset:40
	global_load_dwordx2 v[9:10], v6, s[2:3] offset:24 glc
	global_load_dwordx2 v[2:3], v6, s[2:3]
	s_waitcnt vmcnt(2)
	v_readfirstlane_b32 s8, v0
	v_readfirstlane_b32 s9, v1
	s_add_u32 s10, s8, 1
	s_addc_u32 s11, s9, 0
	s_add_u32 s0, s10, s4
	s_addc_u32 s1, s11, s5
	s_cmp_eq_u64 s[0:1], 0
	s_cselect_b32 s1, s11, s1
	s_cselect_b32 s0, s10, s0
	s_and_b64 s[4:5], s[0:1], s[8:9]
	s_mul_i32 s5, s5, 24
	s_mul_hi_u32 s8, s4, 24
	s_mul_i32 s4, s4, 24
	s_add_i32 s5, s8, s5
	v_mov_b32_e32 v0, s5
	s_waitcnt vmcnt(0)
	v_add_co_u32_e32 v4, vcc, s4, v2
	v_addc_co_u32_e32 v5, vcc, v3, v0, vcc
	v_mov_b32_e32 v7, s0
	global_store_dwordx2 v[4:5], v[9:10], off
	v_mov_b32_e32 v8, s1
	s_waitcnt vmcnt(0)
	global_atomic_cmpswap_x2 v[2:3], v6, v[7:10], s[2:3] offset:24 glc
	s_mov_b64 s[4:5], 0
	s_waitcnt vmcnt(0)
	v_cmp_ne_u64_e32 vcc, v[2:3], v[9:10]
	s_and_b64 exec, exec, vcc
	s_cbranch_execz .LBB12_440
.LBB12_439:                             ; =>This Inner Loop Header: Depth=1
	s_sleep 1
	global_store_dwordx2 v[4:5], v[2:3], off
	v_mov_b32_e32 v0, s0
	v_mov_b32_e32 v1, s1
	s_waitcnt vmcnt(0)
	global_atomic_cmpswap_x2 v[0:1], v6, v[0:3], s[2:3] offset:24 glc
	s_waitcnt vmcnt(0)
	v_cmp_eq_u64_e32 vcc, v[0:1], v[2:3]
	v_mov_b32_e32 v3, v1
	s_or_b64 s[4:5], vcc, s[4:5]
	v_mov_b32_e32 v2, v0
	s_andn2_b64 exec, exec, s[4:5]
	s_cbranch_execnz .LBB12_439
.LBB12_440:
	s_or_b64 exec, exec, s[6:7]
	s_trap 2
	; divergent unreachable
	s_endpgm
	.section	.rodata,"a",@progbits
	.p2align	6, 0x0
	.amdhsa_kernel _ZN9rocsparseL38csr2csr_compress_use_warp_start_deviceILj256ELj64ELj2E21rocsparse_complex_numIfEEEvi21rocsparse_index_base_PKT2_PKiS3_PS4_PiPKjS4_
		.amdhsa_group_segment_fixed_size 0
		.amdhsa_private_segment_fixed_size 0
		.amdhsa_kernarg_size 320
		.amdhsa_user_sgpr_count 6
		.amdhsa_user_sgpr_private_segment_buffer 1
		.amdhsa_user_sgpr_dispatch_ptr 0
		.amdhsa_user_sgpr_queue_ptr 0
		.amdhsa_user_sgpr_kernarg_segment_ptr 1
		.amdhsa_user_sgpr_dispatch_id 0
		.amdhsa_user_sgpr_flat_scratch_init 0
		.amdhsa_user_sgpr_private_segment_size 0
		.amdhsa_uses_dynamic_stack 0
		.amdhsa_system_sgpr_private_segment_wavefront_offset 0
		.amdhsa_system_sgpr_workgroup_id_x 1
		.amdhsa_system_sgpr_workgroup_id_y 0
		.amdhsa_system_sgpr_workgroup_id_z 0
		.amdhsa_system_sgpr_workgroup_info 0
		.amdhsa_system_vgpr_workitem_id 0
		.amdhsa_next_free_vgpr 34
		.amdhsa_next_free_sgpr 26
		.amdhsa_reserve_vcc 1
		.amdhsa_reserve_flat_scratch 0
		.amdhsa_float_round_mode_32 0
		.amdhsa_float_round_mode_16_64 0
		.amdhsa_float_denorm_mode_32 3
		.amdhsa_float_denorm_mode_16_64 3
		.amdhsa_dx10_clamp 1
		.amdhsa_ieee_mode 1
		.amdhsa_fp16_overflow 0
		.amdhsa_exception_fp_ieee_invalid_op 0
		.amdhsa_exception_fp_denorm_src 0
		.amdhsa_exception_fp_ieee_div_zero 0
		.amdhsa_exception_fp_ieee_overflow 0
		.amdhsa_exception_fp_ieee_underflow 0
		.amdhsa_exception_fp_ieee_inexact 0
		.amdhsa_exception_int_div_zero 0
	.end_amdhsa_kernel
	.section	.text._ZN9rocsparseL38csr2csr_compress_use_warp_start_deviceILj256ELj64ELj2E21rocsparse_complex_numIfEEEvi21rocsparse_index_base_PKT2_PKiS3_PS4_PiPKjS4_,"axG",@progbits,_ZN9rocsparseL38csr2csr_compress_use_warp_start_deviceILj256ELj64ELj2E21rocsparse_complex_numIfEEEvi21rocsparse_index_base_PKT2_PKiS3_PS4_PiPKjS4_,comdat
.Lfunc_end12:
	.size	_ZN9rocsparseL38csr2csr_compress_use_warp_start_deviceILj256ELj64ELj2E21rocsparse_complex_numIfEEEvi21rocsparse_index_base_PKT2_PKiS3_PS4_PiPKjS4_, .Lfunc_end12-_ZN9rocsparseL38csr2csr_compress_use_warp_start_deviceILj256ELj64ELj2E21rocsparse_complex_numIfEEEvi21rocsparse_index_base_PKT2_PKiS3_PS4_PiPKjS4_
                                        ; -- End function
	.set _ZN9rocsparseL38csr2csr_compress_use_warp_start_deviceILj256ELj64ELj2E21rocsparse_complex_numIfEEEvi21rocsparse_index_base_PKT2_PKiS3_PS4_PiPKjS4_.num_vgpr, 34
	.set _ZN9rocsparseL38csr2csr_compress_use_warp_start_deviceILj256ELj64ELj2E21rocsparse_complex_numIfEEEvi21rocsparse_index_base_PKT2_PKiS3_PS4_PiPKjS4_.num_agpr, 0
	.set _ZN9rocsparseL38csr2csr_compress_use_warp_start_deviceILj256ELj64ELj2E21rocsparse_complex_numIfEEEvi21rocsparse_index_base_PKT2_PKiS3_PS4_PiPKjS4_.numbered_sgpr, 26
	.set _ZN9rocsparseL38csr2csr_compress_use_warp_start_deviceILj256ELj64ELj2E21rocsparse_complex_numIfEEEvi21rocsparse_index_base_PKT2_PKiS3_PS4_PiPKjS4_.num_named_barrier, 0
	.set _ZN9rocsparseL38csr2csr_compress_use_warp_start_deviceILj256ELj64ELj2E21rocsparse_complex_numIfEEEvi21rocsparse_index_base_PKT2_PKiS3_PS4_PiPKjS4_.private_seg_size, 0
	.set _ZN9rocsparseL38csr2csr_compress_use_warp_start_deviceILj256ELj64ELj2E21rocsparse_complex_numIfEEEvi21rocsparse_index_base_PKT2_PKiS3_PS4_PiPKjS4_.uses_vcc, 1
	.set _ZN9rocsparseL38csr2csr_compress_use_warp_start_deviceILj256ELj64ELj2E21rocsparse_complex_numIfEEEvi21rocsparse_index_base_PKT2_PKiS3_PS4_PiPKjS4_.uses_flat_scratch, 0
	.set _ZN9rocsparseL38csr2csr_compress_use_warp_start_deviceILj256ELj64ELj2E21rocsparse_complex_numIfEEEvi21rocsparse_index_base_PKT2_PKiS3_PS4_PiPKjS4_.has_dyn_sized_stack, 0
	.set _ZN9rocsparseL38csr2csr_compress_use_warp_start_deviceILj256ELj64ELj2E21rocsparse_complex_numIfEEEvi21rocsparse_index_base_PKT2_PKiS3_PS4_PiPKjS4_.has_recursion, 0
	.set _ZN9rocsparseL38csr2csr_compress_use_warp_start_deviceILj256ELj64ELj2E21rocsparse_complex_numIfEEEvi21rocsparse_index_base_PKT2_PKiS3_PS4_PiPKjS4_.has_indirect_call, 0
	.section	.AMDGPU.csdata,"",@progbits
; Kernel info:
; codeLenInByte = 15468
; TotalNumSgprs: 30
; NumVgprs: 34
; ScratchSize: 0
; MemoryBound: 0
; FloatMode: 240
; IeeeMode: 1
; LDSByteSize: 0 bytes/workgroup (compile time only)
; SGPRBlocks: 3
; VGPRBlocks: 8
; NumSGPRsForWavesPerEU: 30
; NumVGPRsForWavesPerEU: 34
; Occupancy: 7
; WaveLimiterHint : 1
; COMPUTE_PGM_RSRC2:SCRATCH_EN: 0
; COMPUTE_PGM_RSRC2:USER_SGPR: 6
; COMPUTE_PGM_RSRC2:TRAP_HANDLER: 0
; COMPUTE_PGM_RSRC2:TGID_X_EN: 1
; COMPUTE_PGM_RSRC2:TGID_Y_EN: 0
; COMPUTE_PGM_RSRC2:TGID_Z_EN: 0
; COMPUTE_PGM_RSRC2:TIDIG_COMP_CNT: 0
	.section	.text._ZN9rocsparseL39csr2csr_compress_fill_warp_start_deviceILj256ELj32ELj2E21rocsparse_complex_numIdEEEviPKT2_PjS3_,"axG",@progbits,_ZN9rocsparseL39csr2csr_compress_fill_warp_start_deviceILj256ELj32ELj2E21rocsparse_complex_numIdEEEviPKT2_PjS3_,comdat
	.globl	_ZN9rocsparseL39csr2csr_compress_fill_warp_start_deviceILj256ELj32ELj2E21rocsparse_complex_numIdEEEviPKT2_PjS3_ ; -- Begin function _ZN9rocsparseL39csr2csr_compress_fill_warp_start_deviceILj256ELj32ELj2E21rocsparse_complex_numIdEEEviPKT2_PjS3_
	.p2align	8
	.type	_ZN9rocsparseL39csr2csr_compress_fill_warp_start_deviceILj256ELj32ELj2E21rocsparse_complex_numIdEEEviPKT2_PjS3_,@function
_ZN9rocsparseL39csr2csr_compress_fill_warp_start_deviceILj256ELj32ELj2E21rocsparse_complex_numIdEEEviPKT2_PjS3_: ; @_ZN9rocsparseL39csr2csr_compress_fill_warp_start_deviceILj256ELj32ELj2E21rocsparse_complex_numIdEEEviPKT2_PjS3_
; %bb.0:
	s_load_dwordx4 s[8:11], s[4:5], 0x8
	v_lshl_or_b32 v6, s6, 9, v0
	v_cmp_eq_u32_e32 vcc, 0, v6
	s_and_saveexec_b64 s[0:1], vcc
	s_cbranch_execz .LBB13_2
; %bb.1:
	v_mov_b32_e32 v1, 0
	s_waitcnt lgkmcnt(0)
	global_store_dword v1, v1, s[10:11]
.LBB13_2:
	s_or_b64 exec, exec, s[0:1]
	s_load_dword s19, s[4:5], 0x0
	s_load_dwordx2 s[2:3], s[4:5], 0x18
	v_lshrrev_b32_e32 v0, 5, v0
	v_lshl_or_b32 v4, s6, 4, v0
	s_mov_b64 s[6:7], 0
	s_waitcnt lgkmcnt(0)
	s_add_i32 s0, s19, -1
	v_cmp_gt_i32_e32 vcc, s19, v6
	s_lshr_b32 s18, s0, 5
	s_mov_b64 s[0:1], -1
	s_and_saveexec_b64 s[12:13], vcc
	s_cbranch_execnz .LBB13_6
; %bb.3:
	s_or_b64 exec, exec, s[12:13]
	s_and_saveexec_b64 s[12:13], s[0:1]
	s_cbranch_execnz .LBB13_23
.LBB13_4:
	s_or_b64 exec, exec, s[12:13]
	s_and_saveexec_b64 s[0:1], s[6:7]
	s_xor_b64 s[0:1], exec, s[0:1]
	s_cbranch_execnz .LBB13_42
.LBB13_5:
	s_endpgm
.LBB13_6:
	v_ashrrev_i32_e32 v7, 31, v6
	v_lshlrev_b64 v[0:1], 4, v[6:7]
	v_mov_b32_e32 v2, s9
	v_add_co_u32_e32 v0, vcc, s8, v0
	v_addc_co_u32_e32 v1, vcc, v2, v1, vcc
	global_load_dwordx4 v[0:3], v[0:1], off glc slc
                                        ; implicit-def: $vgpr9_vgpr10
	s_waitcnt vmcnt(0)
	v_cmp_gt_f64_e32 vcc, 0, v[0:1]
	v_xor_b32_e32 v5, 0x80000000, v1
	v_xor_b32_e32 v7, 0x80000000, v3
	v_cndmask_b32_e32 v1, v1, v5, vcc
	v_cmp_gt_f64_e32 vcc, 0, v[2:3]
	v_cndmask_b32_e32 v8, v3, v7, vcc
	v_mov_b32_e32 v7, v2
	v_cmp_ngt_f64_e64 s[0:1], v[0:1], v[7:8]
	s_and_saveexec_b64 s[6:7], s[0:1]
	s_xor_b64 s[6:7], exec, s[6:7]
	s_cbranch_execz .LBB13_10
; %bb.7:
	v_cmp_neq_f64_e32 vcc, 0, v[2:3]
	v_mov_b32_e32 v9, 0
	v_mov_b32_e32 v10, 0
	s_and_saveexec_b64 s[14:15], vcc
	s_cbranch_execz .LBB13_9
; %bb.8:
	v_div_scale_f64 v[9:10], s[16:17], v[7:8], v[7:8], v[0:1]
	s_mov_b32 s16, 0
	s_brev_b32 s17, 8
	v_mov_b32_e32 v5, 0x100
	v_rcp_f64_e32 v[11:12], v[9:10]
	v_fma_f64 v[13:14], -v[9:10], v[11:12], 1.0
	v_fma_f64 v[11:12], v[11:12], v[13:14], v[11:12]
	v_div_scale_f64 v[13:14], vcc, v[0:1], v[7:8], v[0:1]
	v_fma_f64 v[15:16], -v[9:10], v[11:12], 1.0
	v_fma_f64 v[11:12], v[11:12], v[15:16], v[11:12]
	v_mul_f64 v[15:16], v[13:14], v[11:12]
	v_fma_f64 v[9:10], -v[9:10], v[15:16], v[13:14]
	v_div_fmas_f64 v[9:10], v[9:10], v[11:12], v[15:16]
	v_div_fixup_f64 v[9:10], v[9:10], v[7:8], v[0:1]
	v_fma_f64 v[9:10], v[9:10], v[9:10], 1.0
	v_cmp_gt_f64_e32 vcc, s[16:17], v[9:10]
	v_cndmask_b32_e32 v5, 0, v5, vcc
	v_ldexp_f64 v[9:10], v[9:10], v5
	v_mov_b32_e32 v5, 0xffffff80
	v_cndmask_b32_e32 v5, 0, v5, vcc
	v_rsq_f64_e32 v[11:12], v[9:10]
	v_mul_f64 v[13:14], v[9:10], v[11:12]
	v_mul_f64 v[11:12], v[11:12], 0.5
	v_fma_f64 v[15:16], -v[11:12], v[13:14], 0.5
	v_fma_f64 v[13:14], v[13:14], v[15:16], v[13:14]
	v_fma_f64 v[11:12], v[11:12], v[15:16], v[11:12]
	v_fma_f64 v[15:16], -v[13:14], v[13:14], v[9:10]
	v_fma_f64 v[13:14], v[15:16], v[11:12], v[13:14]
	v_fma_f64 v[15:16], -v[13:14], v[13:14], v[9:10]
	v_fma_f64 v[11:12], v[15:16], v[11:12], v[13:14]
	v_mov_b32_e32 v13, 0x260
	v_cmp_class_f64_e32 vcc, v[9:10], v13
	v_ldexp_f64 v[11:12], v[11:12], v5
	v_cndmask_b32_e32 v10, v12, v10, vcc
	v_cndmask_b32_e32 v9, v11, v9, vcc
	v_mul_f64 v[9:10], v[7:8], v[9:10]
.LBB13_9:
	s_or_b64 exec, exec, s[14:15]
.LBB13_10:
	s_andn2_saveexec_b64 s[6:7], s[6:7]
	s_cbranch_execz .LBB13_12
; %bb.11:
	v_div_scale_f64 v[9:10], s[14:15], v[0:1], v[0:1], v[7:8]
	s_mov_b32 s14, 0
	s_brev_b32 s15, 8
	v_mov_b32_e32 v5, 0x100
	v_rcp_f64_e32 v[11:12], v[9:10]
	v_fma_f64 v[13:14], -v[9:10], v[11:12], 1.0
	v_fma_f64 v[11:12], v[11:12], v[13:14], v[11:12]
	v_div_scale_f64 v[13:14], vcc, v[7:8], v[0:1], v[7:8]
	v_fma_f64 v[15:16], -v[9:10], v[11:12], 1.0
	v_fma_f64 v[11:12], v[11:12], v[15:16], v[11:12]
	v_mul_f64 v[15:16], v[13:14], v[11:12]
	v_fma_f64 v[9:10], -v[9:10], v[15:16], v[13:14]
	v_div_fmas_f64 v[9:10], v[9:10], v[11:12], v[15:16]
	v_div_fixup_f64 v[9:10], v[9:10], v[0:1], v[7:8]
	v_fma_f64 v[9:10], v[9:10], v[9:10], 1.0
	v_cmp_gt_f64_e32 vcc, s[14:15], v[9:10]
	v_cndmask_b32_e32 v5, 0, v5, vcc
	v_ldexp_f64 v[9:10], v[9:10], v5
	v_mov_b32_e32 v5, 0xffffff80
	v_cndmask_b32_e32 v5, 0, v5, vcc
	v_rsq_f64_e32 v[11:12], v[9:10]
	v_mul_f64 v[13:14], v[9:10], v[11:12]
	v_mul_f64 v[11:12], v[11:12], 0.5
	v_fma_f64 v[15:16], -v[11:12], v[13:14], 0.5
	v_fma_f64 v[13:14], v[13:14], v[15:16], v[13:14]
	v_fma_f64 v[11:12], v[11:12], v[15:16], v[11:12]
	v_fma_f64 v[15:16], -v[13:14], v[13:14], v[9:10]
	v_fma_f64 v[13:14], v[15:16], v[11:12], v[13:14]
	v_fma_f64 v[15:16], -v[13:14], v[13:14], v[9:10]
	v_fma_f64 v[11:12], v[15:16], v[11:12], v[13:14]
	v_mov_b32_e32 v13, 0x260
	v_cmp_class_f64_e32 vcc, v[9:10], v13
	v_ldexp_f64 v[11:12], v[11:12], v5
	v_cndmask_b32_e32 v10, v12, v10, vcc
	v_cndmask_b32_e32 v9, v11, v9, vcc
	v_mul_f64 v[9:10], v[0:1], v[9:10]
.LBB13_12:
	s_or_b64 exec, exec, s[6:7]
	v_cmp_lt_f64_e32 vcc, s[2:3], v[9:10]
	s_mov_b64 s[14:15], 0
	s_and_saveexec_b64 s[6:7], vcc
	s_cbranch_execz .LBB13_20
; %bb.13:
                                        ; implicit-def: $vgpr9_vgpr10
	s_and_saveexec_b64 s[14:15], s[0:1]
	s_xor_b64 s[0:1], exec, s[14:15]
	s_cbranch_execz .LBB13_17
; %bb.14:
	v_cmp_neq_f64_e32 vcc, 0, v[2:3]
	v_mov_b32_e32 v9, 0
	v_mov_b32_e32 v10, 0
	s_and_saveexec_b64 s[14:15], vcc
	s_cbranch_execz .LBB13_16
; %bb.15:
	v_div_scale_f64 v[2:3], s[16:17], v[7:8], v[7:8], v[0:1]
	s_mov_b32 s16, 0
	s_brev_b32 s17, 8
	v_mov_b32_e32 v5, 0xffffff80
	v_rcp_f64_e32 v[9:10], v[2:3]
	v_fma_f64 v[11:12], -v[2:3], v[9:10], 1.0
	v_fma_f64 v[9:10], v[9:10], v[11:12], v[9:10]
	v_div_scale_f64 v[11:12], vcc, v[0:1], v[7:8], v[0:1]
	v_fma_f64 v[13:14], -v[2:3], v[9:10], 1.0
	v_fma_f64 v[9:10], v[9:10], v[13:14], v[9:10]
	v_mul_f64 v[13:14], v[11:12], v[9:10]
	v_fma_f64 v[2:3], -v[2:3], v[13:14], v[11:12]
	v_div_fmas_f64 v[2:3], v[2:3], v[9:10], v[13:14]
	v_div_fixup_f64 v[0:1], v[2:3], v[7:8], v[0:1]
	v_mov_b32_e32 v2, 0x100
	v_fma_f64 v[0:1], v[0:1], v[0:1], 1.0
	v_cmp_gt_f64_e32 vcc, s[16:17], v[0:1]
	v_cndmask_b32_e32 v2, 0, v2, vcc
	v_ldexp_f64 v[0:1], v[0:1], v2
	v_cndmask_b32_e32 v5, 0, v5, vcc
	v_rsq_f64_e32 v[2:3], v[0:1]
	v_mul_f64 v[9:10], v[0:1], v[2:3]
	v_mul_f64 v[2:3], v[2:3], 0.5
	v_fma_f64 v[11:12], -v[2:3], v[9:10], 0.5
	v_fma_f64 v[9:10], v[9:10], v[11:12], v[9:10]
	v_fma_f64 v[2:3], v[2:3], v[11:12], v[2:3]
	v_fma_f64 v[11:12], -v[9:10], v[9:10], v[0:1]
	v_fma_f64 v[9:10], v[11:12], v[2:3], v[9:10]
	v_fma_f64 v[11:12], -v[9:10], v[9:10], v[0:1]
	v_fma_f64 v[2:3], v[11:12], v[2:3], v[9:10]
	v_mov_b32_e32 v9, 0x260
	v_cmp_class_f64_e32 vcc, v[0:1], v9
	v_ldexp_f64 v[2:3], v[2:3], v5
	v_cndmask_b32_e32 v1, v3, v1, vcc
	v_cndmask_b32_e32 v0, v2, v0, vcc
	v_mul_f64 v[9:10], v[7:8], v[0:1]
.LBB13_16:
	s_or_b64 exec, exec, s[14:15]
                                        ; implicit-def: $vgpr0_vgpr1
                                        ; implicit-def: $vgpr7_vgpr8
.LBB13_17:
	s_andn2_saveexec_b64 s[0:1], s[0:1]
	s_cbranch_execz .LBB13_19
; %bb.18:
	v_div_scale_f64 v[2:3], s[14:15], v[0:1], v[0:1], v[7:8]
	s_mov_b32 s14, 0
	s_brev_b32 s15, 8
	v_mov_b32_e32 v5, 0x100
	v_rcp_f64_e32 v[9:10], v[2:3]
	v_fma_f64 v[11:12], -v[2:3], v[9:10], 1.0
	v_fma_f64 v[9:10], v[9:10], v[11:12], v[9:10]
	v_div_scale_f64 v[11:12], vcc, v[7:8], v[0:1], v[7:8]
	v_fma_f64 v[13:14], -v[2:3], v[9:10], 1.0
	v_fma_f64 v[9:10], v[9:10], v[13:14], v[9:10]
	v_mul_f64 v[13:14], v[11:12], v[9:10]
	v_fma_f64 v[2:3], -v[2:3], v[13:14], v[11:12]
	v_div_fmas_f64 v[2:3], v[2:3], v[9:10], v[13:14]
	v_div_fixup_f64 v[2:3], v[2:3], v[0:1], v[7:8]
	v_fma_f64 v[2:3], v[2:3], v[2:3], 1.0
	v_cmp_gt_f64_e32 vcc, s[14:15], v[2:3]
	v_cndmask_b32_e32 v5, 0, v5, vcc
	v_ldexp_f64 v[2:3], v[2:3], v5
	v_mov_b32_e32 v5, 0xffffff80
	v_cndmask_b32_e32 v5, 0, v5, vcc
	v_rsq_f64_e32 v[7:8], v[2:3]
	v_mul_f64 v[9:10], v[2:3], v[7:8]
	v_mul_f64 v[7:8], v[7:8], 0.5
	v_fma_f64 v[11:12], -v[7:8], v[9:10], 0.5
	v_fma_f64 v[9:10], v[9:10], v[11:12], v[9:10]
	v_fma_f64 v[7:8], v[7:8], v[11:12], v[7:8]
	v_fma_f64 v[11:12], -v[9:10], v[9:10], v[2:3]
	v_fma_f64 v[9:10], v[11:12], v[7:8], v[9:10]
	v_fma_f64 v[11:12], -v[9:10], v[9:10], v[2:3]
	v_fma_f64 v[7:8], v[11:12], v[7:8], v[9:10]
	v_mov_b32_e32 v9, 0x260
	v_cmp_class_f64_e32 vcc, v[2:3], v9
	v_ldexp_f64 v[7:8], v[7:8], v5
	v_cndmask_b32_e32 v3, v8, v3, vcc
	v_cndmask_b32_e32 v2, v7, v2, vcc
	v_mul_f64 v[9:10], v[0:1], v[2:3]
.LBB13_19:
	s_or_b64 exec, exec, s[0:1]
	s_mov_b32 s0, 0
	s_mov_b32 s1, 0x38100000
	v_cmp_lt_f64_e32 vcc, s[0:1], v[9:10]
	s_and_b64 s[14:15], vcc, exec
.LBB13_20:
	s_or_b64 exec, exec, s[6:7]
	v_cndmask_b32_e64 v0, 0, 1, s[14:15]
	v_cmp_ne_u32_e32 vcc, 0, v0
	v_cmp_ge_u32_e64 s[0:1], s18, v4
	s_mov_b64 s[14:15], 0
	s_mov_b64 s[16:17], -1
	s_and_saveexec_b64 s[6:7], s[0:1]
	s_cbranch_execz .LBB13_22
; %bb.21:
	v_mov_b32_e32 v5, 0
	v_lshlrev_b64 v[0:1], 2, v[4:5]
	s_bcnt1_i32_b64 s0, vcc
	v_mov_b32_e32 v2, s11
	v_add_co_u32_e32 v0, vcc, s10, v0
	s_mov_b64 s[14:15], exec
	v_addc_co_u32_e32 v1, vcc, v2, v1, vcc
	v_mov_b32_e32 v2, s0
	s_xor_b64 s[16:17], exec, -1
	global_store_dword v[0:1], v2, off offset:4
.LBB13_22:
	s_or_b64 exec, exec, s[6:7]
	s_and_b64 s[6:7], s[16:17], exec
	s_orn2_b64 s[0:1], s[14:15], exec
	s_or_b64 exec, exec, s[12:13]
	s_and_saveexec_b64 s[12:13], s[0:1]
	s_cbranch_execz .LBB13_4
.LBB13_23:
	v_add_u32_e32 v0, 0x100, v6
	v_cmp_gt_i32_e32 vcc, s19, v0
	s_mov_b64 s[0:1], s[6:7]
	s_and_saveexec_b64 s[14:15], vcc
	s_cbranch_execz .LBB13_41
; %bb.24:
	v_ashrrev_i32_e32 v1, 31, v0
	v_lshlrev_b64 v[0:1], 4, v[0:1]
	v_mov_b32_e32 v2, s9
	v_add_co_u32_e32 v0, vcc, s8, v0
	v_addc_co_u32_e32 v1, vcc, v2, v1, vcc
	global_load_dwordx4 v[0:3], v[0:1], off glc slc
                                        ; implicit-def: $vgpr7_vgpr8
	s_waitcnt vmcnt(0)
	v_cmp_gt_f64_e32 vcc, 0, v[0:1]
	v_xor_b32_e32 v5, 0x80000000, v1
	v_xor_b32_e32 v6, 0x80000000, v3
	v_cndmask_b32_e32 v1, v1, v5, vcc
	v_cmp_gt_f64_e32 vcc, 0, v[2:3]
	v_mov_b32_e32 v5, v2
	v_cndmask_b32_e32 v6, v3, v6, vcc
	v_cmp_ngt_f64_e64 s[0:1], v[0:1], v[5:6]
	s_and_saveexec_b64 s[8:9], s[0:1]
	s_xor_b64 s[8:9], exec, s[8:9]
	s_cbranch_execz .LBB13_28
; %bb.25:
	v_cmp_neq_f64_e32 vcc, 0, v[2:3]
	v_mov_b32_e32 v7, 0
	v_mov_b32_e32 v8, 0
	s_and_saveexec_b64 s[16:17], vcc
	s_cbranch_execz .LBB13_27
; %bb.26:
	v_div_scale_f64 v[7:8], s[20:21], v[5:6], v[5:6], v[0:1]
	s_mov_b32 s20, 0
	s_brev_b32 s21, 8
	v_rcp_f64_e32 v[9:10], v[7:8]
	v_fma_f64 v[11:12], -v[7:8], v[9:10], 1.0
	v_fma_f64 v[9:10], v[9:10], v[11:12], v[9:10]
	v_div_scale_f64 v[11:12], vcc, v[0:1], v[5:6], v[0:1]
	v_fma_f64 v[13:14], -v[7:8], v[9:10], 1.0
	v_fma_f64 v[9:10], v[9:10], v[13:14], v[9:10]
	v_mul_f64 v[13:14], v[11:12], v[9:10]
	v_fma_f64 v[7:8], -v[7:8], v[13:14], v[11:12]
	v_div_fmas_f64 v[7:8], v[7:8], v[9:10], v[13:14]
	v_mov_b32_e32 v9, 0x100
	v_div_fixup_f64 v[7:8], v[7:8], v[5:6], v[0:1]
	v_fma_f64 v[7:8], v[7:8], v[7:8], 1.0
	v_cmp_gt_f64_e32 vcc, s[20:21], v[7:8]
	v_cndmask_b32_e32 v9, 0, v9, vcc
	v_ldexp_f64 v[7:8], v[7:8], v9
	v_rsq_f64_e32 v[9:10], v[7:8]
	v_mul_f64 v[11:12], v[7:8], v[9:10]
	v_mul_f64 v[9:10], v[9:10], 0.5
	v_fma_f64 v[13:14], -v[9:10], v[11:12], 0.5
	v_fma_f64 v[11:12], v[11:12], v[13:14], v[11:12]
	v_fma_f64 v[9:10], v[9:10], v[13:14], v[9:10]
	v_fma_f64 v[13:14], -v[11:12], v[11:12], v[7:8]
	v_fma_f64 v[11:12], v[13:14], v[9:10], v[11:12]
	v_fma_f64 v[13:14], -v[11:12], v[11:12], v[7:8]
	v_fma_f64 v[9:10], v[13:14], v[9:10], v[11:12]
	v_mov_b32_e32 v11, 0xffffff80
	v_mov_b32_e32 v12, 0x260
	v_cndmask_b32_e32 v11, 0, v11, vcc
	v_cmp_class_f64_e32 vcc, v[7:8], v12
	v_ldexp_f64 v[9:10], v[9:10], v11
	v_cndmask_b32_e32 v8, v10, v8, vcc
	v_cndmask_b32_e32 v7, v9, v7, vcc
	v_mul_f64 v[7:8], v[5:6], v[7:8]
.LBB13_27:
	s_or_b64 exec, exec, s[16:17]
.LBB13_28:
	s_andn2_saveexec_b64 s[8:9], s[8:9]
	s_cbranch_execz .LBB13_30
; %bb.29:
	v_div_scale_f64 v[7:8], s[16:17], v[0:1], v[0:1], v[5:6]
	s_mov_b32 s16, 0
	s_brev_b32 s17, 8
	v_rcp_f64_e32 v[9:10], v[7:8]
	v_fma_f64 v[11:12], -v[7:8], v[9:10], 1.0
	v_fma_f64 v[9:10], v[9:10], v[11:12], v[9:10]
	v_div_scale_f64 v[11:12], vcc, v[5:6], v[0:1], v[5:6]
	v_fma_f64 v[13:14], -v[7:8], v[9:10], 1.0
	v_fma_f64 v[9:10], v[9:10], v[13:14], v[9:10]
	v_mul_f64 v[13:14], v[11:12], v[9:10]
	v_fma_f64 v[7:8], -v[7:8], v[13:14], v[11:12]
	v_div_fmas_f64 v[7:8], v[7:8], v[9:10], v[13:14]
	v_mov_b32_e32 v9, 0x100
	v_div_fixup_f64 v[7:8], v[7:8], v[0:1], v[5:6]
	v_fma_f64 v[7:8], v[7:8], v[7:8], 1.0
	v_cmp_gt_f64_e32 vcc, s[16:17], v[7:8]
	v_cndmask_b32_e32 v9, 0, v9, vcc
	v_ldexp_f64 v[7:8], v[7:8], v9
	v_rsq_f64_e32 v[9:10], v[7:8]
	v_mul_f64 v[11:12], v[7:8], v[9:10]
	v_mul_f64 v[9:10], v[9:10], 0.5
	v_fma_f64 v[13:14], -v[9:10], v[11:12], 0.5
	v_fma_f64 v[11:12], v[11:12], v[13:14], v[11:12]
	v_fma_f64 v[9:10], v[9:10], v[13:14], v[9:10]
	v_fma_f64 v[13:14], -v[11:12], v[11:12], v[7:8]
	v_fma_f64 v[11:12], v[13:14], v[9:10], v[11:12]
	v_fma_f64 v[13:14], -v[11:12], v[11:12], v[7:8]
	v_fma_f64 v[9:10], v[13:14], v[9:10], v[11:12]
	v_mov_b32_e32 v11, 0xffffff80
	v_mov_b32_e32 v12, 0x260
	v_cndmask_b32_e32 v11, 0, v11, vcc
	v_cmp_class_f64_e32 vcc, v[7:8], v12
	v_ldexp_f64 v[9:10], v[9:10], v11
	v_cndmask_b32_e32 v8, v10, v8, vcc
	v_cndmask_b32_e32 v7, v9, v7, vcc
	v_mul_f64 v[7:8], v[0:1], v[7:8]
.LBB13_30:
	s_or_b64 exec, exec, s[8:9]
	v_cmp_lt_f64_e32 vcc, s[2:3], v[7:8]
	s_mov_b64 s[8:9], 0
	s_and_saveexec_b64 s[2:3], vcc
	s_cbranch_execz .LBB13_38
; %bb.31:
                                        ; implicit-def: $vgpr7_vgpr8
	s_and_saveexec_b64 s[8:9], s[0:1]
	s_xor_b64 s[0:1], exec, s[8:9]
	s_cbranch_execz .LBB13_35
; %bb.32:
	v_cmp_neq_f64_e32 vcc, 0, v[2:3]
	v_mov_b32_e32 v7, 0
	v_mov_b32_e32 v8, 0
	s_and_saveexec_b64 s[8:9], vcc
	s_cbranch_execz .LBB13_34
; %bb.33:
	v_div_scale_f64 v[2:3], s[16:17], v[5:6], v[5:6], v[0:1]
	s_mov_b32 s16, 0
	s_brev_b32 s17, 8
	v_rcp_f64_e32 v[7:8], v[2:3]
	v_fma_f64 v[9:10], -v[2:3], v[7:8], 1.0
	v_fma_f64 v[7:8], v[7:8], v[9:10], v[7:8]
	v_div_scale_f64 v[9:10], vcc, v[0:1], v[5:6], v[0:1]
	v_fma_f64 v[11:12], -v[2:3], v[7:8], 1.0
	v_fma_f64 v[7:8], v[7:8], v[11:12], v[7:8]
	v_mul_f64 v[11:12], v[9:10], v[7:8]
	v_fma_f64 v[2:3], -v[2:3], v[11:12], v[9:10]
	v_div_fmas_f64 v[2:3], v[2:3], v[7:8], v[11:12]
	v_div_fixup_f64 v[0:1], v[2:3], v[5:6], v[0:1]
	v_mov_b32_e32 v2, 0x100
	v_fma_f64 v[0:1], v[0:1], v[0:1], 1.0
	v_cmp_gt_f64_e32 vcc, s[16:17], v[0:1]
	v_cndmask_b32_e32 v2, 0, v2, vcc
	v_ldexp_f64 v[0:1], v[0:1], v2
	v_rsq_f64_e32 v[2:3], v[0:1]
	v_mul_f64 v[7:8], v[0:1], v[2:3]
	v_mul_f64 v[2:3], v[2:3], 0.5
	v_fma_f64 v[9:10], -v[2:3], v[7:8], 0.5
	v_fma_f64 v[7:8], v[7:8], v[9:10], v[7:8]
	v_fma_f64 v[2:3], v[2:3], v[9:10], v[2:3]
	v_fma_f64 v[9:10], -v[7:8], v[7:8], v[0:1]
	v_fma_f64 v[7:8], v[9:10], v[2:3], v[7:8]
	v_fma_f64 v[9:10], -v[7:8], v[7:8], v[0:1]
	v_fma_f64 v[2:3], v[9:10], v[2:3], v[7:8]
	v_mov_b32_e32 v7, 0xffffff80
	v_mov_b32_e32 v8, 0x260
	v_cndmask_b32_e32 v7, 0, v7, vcc
	v_cmp_class_f64_e32 vcc, v[0:1], v8
	v_ldexp_f64 v[2:3], v[2:3], v7
	v_cndmask_b32_e32 v1, v3, v1, vcc
	v_cndmask_b32_e32 v0, v2, v0, vcc
	v_mul_f64 v[7:8], v[5:6], v[0:1]
.LBB13_34:
	s_or_b64 exec, exec, s[8:9]
                                        ; implicit-def: $vgpr0_vgpr1
                                        ; implicit-def: $vgpr5_vgpr6
.LBB13_35:
	s_andn2_saveexec_b64 s[0:1], s[0:1]
	s_cbranch_execz .LBB13_37
; %bb.36:
	v_div_scale_f64 v[2:3], s[8:9], v[0:1], v[0:1], v[5:6]
	s_mov_b32 s8, 0
	s_brev_b32 s9, 8
	v_rcp_f64_e32 v[7:8], v[2:3]
	v_fma_f64 v[9:10], -v[2:3], v[7:8], 1.0
	v_fma_f64 v[7:8], v[7:8], v[9:10], v[7:8]
	v_div_scale_f64 v[9:10], vcc, v[5:6], v[0:1], v[5:6]
	v_fma_f64 v[11:12], -v[2:3], v[7:8], 1.0
	v_fma_f64 v[7:8], v[7:8], v[11:12], v[7:8]
	v_mul_f64 v[11:12], v[9:10], v[7:8]
	v_fma_f64 v[2:3], -v[2:3], v[11:12], v[9:10]
	v_div_fmas_f64 v[2:3], v[2:3], v[7:8], v[11:12]
	v_div_fixup_f64 v[2:3], v[2:3], v[0:1], v[5:6]
	v_mov_b32_e32 v5, 0x100
	v_fma_f64 v[2:3], v[2:3], v[2:3], 1.0
	v_cmp_gt_f64_e32 vcc, s[8:9], v[2:3]
	v_cndmask_b32_e32 v5, 0, v5, vcc
	v_ldexp_f64 v[2:3], v[2:3], v5
	v_rsq_f64_e32 v[5:6], v[2:3]
	v_mul_f64 v[7:8], v[2:3], v[5:6]
	v_mul_f64 v[5:6], v[5:6], 0.5
	v_fma_f64 v[9:10], -v[5:6], v[7:8], 0.5
	v_fma_f64 v[7:8], v[7:8], v[9:10], v[7:8]
	v_fma_f64 v[5:6], v[5:6], v[9:10], v[5:6]
	v_fma_f64 v[9:10], -v[7:8], v[7:8], v[2:3]
	v_fma_f64 v[7:8], v[9:10], v[5:6], v[7:8]
	v_fma_f64 v[9:10], -v[7:8], v[7:8], v[2:3]
	v_fma_f64 v[5:6], v[9:10], v[5:6], v[7:8]
	v_mov_b32_e32 v7, 0xffffff80
	v_mov_b32_e32 v8, 0x260
	v_cndmask_b32_e32 v7, 0, v7, vcc
	v_cmp_class_f64_e32 vcc, v[2:3], v8
	v_ldexp_f64 v[5:6], v[5:6], v7
	v_cndmask_b32_e32 v3, v6, v3, vcc
	v_cndmask_b32_e32 v2, v5, v2, vcc
	v_mul_f64 v[7:8], v[0:1], v[2:3]
.LBB13_37:
	s_or_b64 exec, exec, s[0:1]
	s_mov_b32 s0, 0
	s_mov_b32 s1, 0x38100000
	v_cmp_lt_f64_e32 vcc, s[0:1], v[7:8]
	s_and_b64 s[8:9], vcc, exec
.LBB13_38:
	s_or_b64 exec, exec, s[2:3]
	v_cndmask_b32_e64 v0, 0, 1, s[8:9]
	v_cmp_ne_u32_e32 vcc, 0, v0
	v_add_u32_e32 v0, 8, v4
	v_cmp_ge_u32_e64 s[0:1], s18, v0
	s_mov_b64 s[2:3], -1
	s_and_saveexec_b64 s[8:9], s[0:1]
	s_xor_b64 s[0:1], exec, s[8:9]
	s_cbranch_execz .LBB13_40
; %bb.39:
	v_mov_b32_e32 v1, 0
	v_lshlrev_b64 v[0:1], 2, v[0:1]
	s_bcnt1_i32_b64 s2, vcc
	v_mov_b32_e32 v2, s11
	v_add_co_u32_e32 v0, vcc, s10, v0
	v_addc_co_u32_e32 v1, vcc, v2, v1, vcc
	v_mov_b32_e32 v2, s2
	s_xor_b64 s[2:3], exec, -1
	global_store_dword v[0:1], v2, off offset:4
.LBB13_40:
	s_or_b64 exec, exec, s[0:1]
	s_andn2_b64 s[0:1], s[6:7], exec
	s_and_b64 s[2:3], s[2:3], exec
	s_or_b64 s[0:1], s[0:1], s[2:3]
.LBB13_41:
	s_or_b64 exec, exec, s[14:15]
	s_andn2_b64 s[2:3], s[6:7], exec
	s_and_b64 s[0:1], s[0:1], exec
	s_or_b64 s[6:7], s[2:3], s[0:1]
	s_or_b64 exec, exec, s[12:13]
	s_and_saveexec_b64 s[0:1], s[6:7]
	s_xor_b64 s[0:1], exec, s[0:1]
	s_cbranch_execz .LBB13_5
.LBB13_42:
	s_load_dwordx2 s[2:3], s[4:5], 0x78
	v_mbcnt_lo_u32_b32 v0, -1, 0
	v_mbcnt_hi_u32_b32 v32, -1, v0
	v_readfirstlane_b32 s0, v32
	v_mov_b32_e32 v5, 0
	v_mov_b32_e32 v6, 0
	v_cmp_eq_u32_e64 s[0:1], s0, v32
	s_and_saveexec_b64 s[4:5], s[0:1]
	s_cbranch_execz .LBB13_48
; %bb.43:
	v_mov_b32_e32 v0, 0
	s_waitcnt lgkmcnt(0)
	global_load_dwordx2 v[3:4], v0, s[2:3] offset:24 glc
	s_waitcnt vmcnt(0)
	buffer_wbinvl1_vol
	global_load_dwordx2 v[1:2], v0, s[2:3] offset:40
	global_load_dwordx2 v[5:6], v0, s[2:3]
	s_waitcnt vmcnt(1)
	v_and_b32_e32 v1, v1, v3
	v_and_b32_e32 v2, v2, v4
	v_mul_lo_u32 v2, v2, 24
	v_mul_hi_u32 v7, v1, 24
	v_mul_lo_u32 v1, v1, 24
	v_add_u32_e32 v2, v7, v2
	s_waitcnt vmcnt(0)
	v_add_co_u32_e32 v1, vcc, v5, v1
	v_addc_co_u32_e32 v2, vcc, v6, v2, vcc
	global_load_dwordx2 v[1:2], v[1:2], off glc
	s_waitcnt vmcnt(0)
	global_atomic_cmpswap_x2 v[5:6], v0, v[1:4], s[2:3] offset:24 glc
	s_waitcnt vmcnt(0)
	buffer_wbinvl1_vol
	v_cmp_ne_u64_e32 vcc, v[5:6], v[3:4]
	s_and_saveexec_b64 s[6:7], vcc
	s_cbranch_execz .LBB13_47
; %bb.44:
	s_mov_b64 s[8:9], 0
.LBB13_45:                              ; =>This Inner Loop Header: Depth=1
	s_sleep 1
	global_load_dwordx2 v[1:2], v0, s[2:3] offset:40
	global_load_dwordx2 v[7:8], v0, s[2:3]
	v_mov_b32_e32 v3, v5
	v_mov_b32_e32 v4, v6
	s_waitcnt vmcnt(1)
	v_and_b32_e32 v1, v1, v3
	s_waitcnt vmcnt(0)
	v_mad_u64_u32 v[5:6], s[10:11], v1, 24, v[7:8]
	v_and_b32_e32 v2, v2, v4
	v_mov_b32_e32 v1, v6
	v_mad_u64_u32 v[1:2], s[10:11], v2, 24, v[1:2]
	v_mov_b32_e32 v6, v1
	global_load_dwordx2 v[1:2], v[5:6], off glc
	s_waitcnt vmcnt(0)
	global_atomic_cmpswap_x2 v[5:6], v0, v[1:4], s[2:3] offset:24 glc
	s_waitcnt vmcnt(0)
	buffer_wbinvl1_vol
	v_cmp_eq_u64_e32 vcc, v[5:6], v[3:4]
	s_or_b64 s[8:9], vcc, s[8:9]
	s_andn2_b64 exec, exec, s[8:9]
	s_cbranch_execnz .LBB13_45
; %bb.46:
	s_or_b64 exec, exec, s[8:9]
.LBB13_47:
	s_or_b64 exec, exec, s[6:7]
.LBB13_48:
	s_or_b64 exec, exec, s[4:5]
	v_mov_b32_e32 v4, 0
	s_waitcnt lgkmcnt(0)
	global_load_dwordx2 v[7:8], v4, s[2:3] offset:40
	global_load_dwordx4 v[0:3], v4, s[2:3]
	v_readfirstlane_b32 s5, v6
	v_readfirstlane_b32 s4, v5
	s_mov_b64 s[6:7], exec
	s_waitcnt vmcnt(1)
	v_readfirstlane_b32 s8, v7
	v_readfirstlane_b32 s9, v8
	s_and_b64 s[8:9], s[8:9], s[4:5]
	s_mul_i32 s10, s9, 24
	s_mul_hi_u32 s11, s8, 24
	s_mul_i32 s12, s8, 24
	s_add_i32 s10, s11, s10
	v_mov_b32_e32 v5, s10
	s_waitcnt vmcnt(0)
	v_add_co_u32_e32 v7, vcc, s12, v0
	v_addc_co_u32_e32 v8, vcc, v1, v5, vcc
	s_and_saveexec_b64 s[10:11], s[0:1]
	s_cbranch_execz .LBB13_50
; %bb.49:
	v_mov_b32_e32 v10, s7
	v_mov_b32_e32 v9, s6
	;; [unrolled: 1-line block ×4, first 2 shown]
	global_store_dwordx4 v[7:8], v[9:12], off offset:8
.LBB13_50:
	s_or_b64 exec, exec, s[10:11]
	s_lshl_b64 s[6:7], s[8:9], 12
	v_mov_b32_e32 v5, s7
	v_add_co_u32_e32 v2, vcc, s6, v2
	v_addc_co_u32_e32 v11, vcc, v3, v5, vcc
	v_lshlrev_b32_e32 v31, 6, v32
	s_mov_b32 s8, 0
	v_mov_b32_e32 v3, 33
	v_mov_b32_e32 v5, v4
	;; [unrolled: 1-line block ×3, first 2 shown]
	v_readfirstlane_b32 s6, v2
	v_readfirstlane_b32 s7, v11
	v_add_co_u32_e32 v9, vcc, v2, v31
	s_mov_b32 s9, s8
	s_mov_b32 s10, s8
	s_mov_b32 s11, s8
	s_nop 0
	global_store_dwordx4 v31, v[3:6], s[6:7]
	v_mov_b32_e32 v2, s8
	v_addc_co_u32_e32 v10, vcc, 0, v11, vcc
	v_mov_b32_e32 v3, s9
	v_mov_b32_e32 v4, s10
	;; [unrolled: 1-line block ×3, first 2 shown]
	global_store_dwordx4 v31, v[2:5], s[6:7] offset:16
	global_store_dwordx4 v31, v[2:5], s[6:7] offset:32
	;; [unrolled: 1-line block ×3, first 2 shown]
	s_and_saveexec_b64 s[6:7], s[0:1]
	s_cbranch_execz .LBB13_58
; %bb.51:
	v_mov_b32_e32 v6, 0
	global_load_dwordx2 v[13:14], v6, s[2:3] offset:32 glc
	global_load_dwordx2 v[2:3], v6, s[2:3] offset:40
	v_mov_b32_e32 v11, s4
	v_mov_b32_e32 v12, s5
	s_waitcnt vmcnt(0)
	v_and_b32_e32 v2, s4, v2
	v_and_b32_e32 v3, s5, v3
	v_mul_lo_u32 v3, v3, 24
	v_mul_hi_u32 v4, v2, 24
	v_mul_lo_u32 v2, v2, 24
	v_add_u32_e32 v3, v4, v3
	v_add_co_u32_e32 v4, vcc, v0, v2
	v_addc_co_u32_e32 v5, vcc, v1, v3, vcc
	global_store_dwordx2 v[4:5], v[13:14], off
	s_waitcnt vmcnt(0)
	global_atomic_cmpswap_x2 v[2:3], v6, v[11:14], s[2:3] offset:32 glc
	s_waitcnt vmcnt(0)
	v_cmp_ne_u64_e32 vcc, v[2:3], v[13:14]
	s_and_saveexec_b64 s[8:9], vcc
	s_cbranch_execz .LBB13_54
; %bb.52:
	s_mov_b64 s[10:11], 0
.LBB13_53:                              ; =>This Inner Loop Header: Depth=1
	s_sleep 1
	global_store_dwordx2 v[4:5], v[2:3], off
	v_mov_b32_e32 v0, s4
	v_mov_b32_e32 v1, s5
	s_waitcnt vmcnt(0)
	global_atomic_cmpswap_x2 v[0:1], v6, v[0:3], s[2:3] offset:32 glc
	s_waitcnt vmcnt(0)
	v_cmp_eq_u64_e32 vcc, v[0:1], v[2:3]
	v_mov_b32_e32 v3, v1
	s_or_b64 s[10:11], vcc, s[10:11]
	v_mov_b32_e32 v2, v0
	s_andn2_b64 exec, exec, s[10:11]
	s_cbranch_execnz .LBB13_53
.LBB13_54:
	s_or_b64 exec, exec, s[8:9]
	v_mov_b32_e32 v3, 0
	global_load_dwordx2 v[0:1], v3, s[2:3] offset:16
	s_mov_b64 s[8:9], exec
	v_mbcnt_lo_u32_b32 v2, s8, 0
	v_mbcnt_hi_u32_b32 v2, s9, v2
	v_cmp_eq_u32_e32 vcc, 0, v2
	s_and_saveexec_b64 s[10:11], vcc
	s_cbranch_execz .LBB13_56
; %bb.55:
	s_bcnt1_i32_b64 s8, s[8:9]
	v_mov_b32_e32 v2, s8
	s_waitcnt vmcnt(0)
	global_atomic_add_x2 v[0:1], v[2:3], off offset:8
.LBB13_56:
	s_or_b64 exec, exec, s[10:11]
	s_waitcnt vmcnt(0)
	global_load_dwordx2 v[2:3], v[0:1], off offset:16
	s_waitcnt vmcnt(0)
	v_cmp_eq_u64_e32 vcc, 0, v[2:3]
	s_cbranch_vccnz .LBB13_58
; %bb.57:
	global_load_dword v0, v[0:1], off offset:24
	v_mov_b32_e32 v1, 0
	s_waitcnt vmcnt(0)
	v_readfirstlane_b32 s8, v0
	s_and_b32 m0, s8, 0xffffff
	global_store_dwordx2 v[2:3], v[0:1], off
	s_sendmsg sendmsg(MSG_INTERRUPT)
.LBB13_58:
	s_or_b64 exec, exec, s[6:7]
	s_branch .LBB13_62
.LBB13_59:                              ;   in Loop: Header=BB13_62 Depth=1
	s_or_b64 exec, exec, s[6:7]
	v_readfirstlane_b32 s6, v0
	s_cmp_eq_u32 s6, 0
	s_cbranch_scc1 .LBB13_61
; %bb.60:                               ;   in Loop: Header=BB13_62 Depth=1
	s_sleep 1
	s_cbranch_execnz .LBB13_62
	s_branch .LBB13_64
.LBB13_61:
	s_branch .LBB13_64
.LBB13_62:                              ; =>This Inner Loop Header: Depth=1
	v_mov_b32_e32 v0, 1
	s_and_saveexec_b64 s[6:7], s[0:1]
	s_cbranch_execz .LBB13_59
; %bb.63:                               ;   in Loop: Header=BB13_62 Depth=1
	global_load_dword v0, v[7:8], off offset:20 glc
	s_waitcnt vmcnt(0)
	buffer_wbinvl1_vol
	v_and_b32_e32 v0, 1, v0
	s_branch .LBB13_59
.LBB13_64:
	global_load_dwordx2 v[0:1], v[9:10], off
	s_and_saveexec_b64 s[6:7], s[0:1]
	s_cbranch_execz .LBB13_67
; %bb.65:
	v_mov_b32_e32 v8, 0
	global_load_dwordx2 v[2:3], v8, s[2:3] offset:40
	global_load_dwordx2 v[11:12], v8, s[2:3] offset:24 glc
	global_load_dwordx2 v[4:5], v8, s[2:3]
	s_waitcnt vmcnt(2)
	v_readfirstlane_b32 s8, v2
	v_readfirstlane_b32 s9, v3
	s_add_u32 s10, s8, 1
	s_addc_u32 s11, s9, 0
	s_add_u32 s0, s10, s4
	s_addc_u32 s1, s11, s5
	s_cmp_eq_u64 s[0:1], 0
	s_cselect_b32 s1, s11, s1
	s_cselect_b32 s0, s10, s0
	s_and_b64 s[4:5], s[0:1], s[8:9]
	s_mul_i32 s5, s5, 24
	s_mul_hi_u32 s8, s4, 24
	s_mul_i32 s4, s4, 24
	s_add_i32 s5, s8, s5
	v_mov_b32_e32 v2, s5
	s_waitcnt vmcnt(0)
	v_add_co_u32_e32 v6, vcc, s4, v4
	v_addc_co_u32_e32 v7, vcc, v5, v2, vcc
	v_mov_b32_e32 v9, s0
	global_store_dwordx2 v[6:7], v[11:12], off
	v_mov_b32_e32 v10, s1
	s_waitcnt vmcnt(0)
	global_atomic_cmpswap_x2 v[4:5], v8, v[9:12], s[2:3] offset:24 glc
	s_mov_b64 s[4:5], 0
	s_waitcnt vmcnt(0)
	v_cmp_ne_u64_e32 vcc, v[4:5], v[11:12]
	s_and_b64 exec, exec, vcc
	s_cbranch_execz .LBB13_67
.LBB13_66:                              ; =>This Inner Loop Header: Depth=1
	s_sleep 1
	global_store_dwordx2 v[6:7], v[4:5], off
	v_mov_b32_e32 v2, s0
	v_mov_b32_e32 v3, s1
	s_waitcnt vmcnt(0)
	global_atomic_cmpswap_x2 v[2:3], v8, v[2:5], s[2:3] offset:24 glc
	s_waitcnt vmcnt(0)
	v_cmp_eq_u64_e32 vcc, v[2:3], v[4:5]
	v_mov_b32_e32 v5, v3
	s_or_b64 s[4:5], vcc, s[4:5]
	v_mov_b32_e32 v4, v2
	s_andn2_b64 exec, exec, s[4:5]
	s_cbranch_execnz .LBB13_66
.LBB13_67:
	s_or_b64 exec, exec, s[6:7]
	s_getpc_b64 s[4:5]
	s_add_u32 s4, s4, .str@rel32@lo+4
	s_addc_u32 s5, s5, .str@rel32@hi+12
	s_cmp_lg_u64 s[4:5], 0
	s_cselect_b64 s[0:1], -1, 0
	s_cmp_eq_u64 s[4:5], 0
	s_mov_b64 s[4:5], 0
	s_cbranch_scc1 .LBB13_71
; %bb.68:
	v_mov_b32_e32 v2, 0
	s_getpc_b64 s[4:5]
	s_add_u32 s4, s4, .str@rel32@lo+3
	s_addc_u32 s5, s5, .str@rel32@hi+11
.LBB13_69:                              ; =>This Inner Loop Header: Depth=1
	global_load_ubyte v3, v2, s[4:5] offset:1
	s_add_u32 s6, s4, 1
	s_addc_u32 s7, s5, 0
	s_mov_b64 s[4:5], s[6:7]
	s_waitcnt vmcnt(0)
	v_cmp_ne_u32_e32 vcc, 0, v3
	s_cbranch_vccnz .LBB13_69
; %bb.70:
	s_getpc_b64 s[4:5]
	s_add_u32 s4, s4, .str@rel32@lo+4
	s_addc_u32 s5, s5, .str@rel32@hi+12
	s_sub_u32 s4, s6, s4
	s_subb_u32 s5, s7, s5
	s_add_u32 s4, s4, 1
	s_addc_u32 s5, s5, 0
.LBB13_71:
	s_and_b64 vcc, exec, s[0:1]
	s_cbranch_vccz .LBB13_156
; %bb.72:
	s_waitcnt vmcnt(0)
	v_and_b32_e32 v33, 2, v0
	v_mov_b32_e32 v28, 0
	v_and_b32_e32 v4, -3, v0
	v_mov_b32_e32 v5, v1
	v_mov_b32_e32 v10, 2
	;; [unrolled: 1-line block ×3, first 2 shown]
	s_getpc_b64 s[6:7]
	s_add_u32 s6, s6, .str@rel32@lo+4
	s_addc_u32 s7, s7, .str@rel32@hi+12
	s_branch .LBB13_74
.LBB13_73:                              ;   in Loop: Header=BB13_74 Depth=1
	s_or_b64 exec, exec, s[12:13]
	s_sub_u32 s4, s4, s8
	s_subb_u32 s5, s5, s9
	s_add_u32 s6, s6, s8
	s_addc_u32 s7, s7, s9
	s_cmp_lg_u64 s[4:5], 0
	s_cbranch_scc0 .LBB13_157
.LBB13_74:                              ; =>This Loop Header: Depth=1
                                        ;     Child Loop BB13_77 Depth 2
                                        ;     Child Loop BB13_85 Depth 2
	;; [unrolled: 1-line block ×11, first 2 shown]
	v_cmp_lt_u64_e64 s[0:1], s[4:5], 56
	v_cmp_gt_u64_e64 s[10:11], s[4:5], 7
	s_and_b64 s[0:1], s[0:1], exec
	s_cselect_b32 s9, s5, 0
	s_cselect_b32 s8, s4, 56
	s_add_u32 s0, s6, 8
	s_addc_u32 s1, s7, 0
	s_and_b64 vcc, exec, s[10:11]
	s_cbranch_vccnz .LBB13_78
; %bb.75:                               ;   in Loop: Header=BB13_74 Depth=1
	s_cmp_eq_u64 s[4:5], 0
	s_cbranch_scc1 .LBB13_79
; %bb.76:                               ;   in Loop: Header=BB13_74 Depth=1
	v_mov_b32_e32 v6, 0
	s_lshl_b64 s[0:1], s[8:9], 3
	s_mov_b64 s[10:11], 0
	v_mov_b32_e32 v7, 0
	s_mov_b64 s[12:13], s[6:7]
.LBB13_77:                              ;   Parent Loop BB13_74 Depth=1
                                        ; =>  This Inner Loop Header: Depth=2
	global_load_ubyte v2, v28, s[12:13]
	s_waitcnt vmcnt(0)
	v_and_b32_e32 v27, 0xffff, v2
	v_lshlrev_b64 v[2:3], s10, v[27:28]
	s_add_u32 s10, s10, 8
	s_addc_u32 s11, s11, 0
	s_add_u32 s12, s12, 1
	s_addc_u32 s13, s13, 0
	v_or_b32_e32 v6, v2, v6
	s_cmp_lg_u32 s0, s10
	v_or_b32_e32 v7, v3, v7
	s_cbranch_scc1 .LBB13_77
	s_branch .LBB13_80
.LBB13_78:                              ;   in Loop: Header=BB13_74 Depth=1
	s_mov_b32 s14, 0
	s_branch .LBB13_81
.LBB13_79:                              ;   in Loop: Header=BB13_74 Depth=1
	v_mov_b32_e32 v6, 0
	v_mov_b32_e32 v7, 0
.LBB13_80:                              ;   in Loop: Header=BB13_74 Depth=1
	s_mov_b64 s[0:1], s[6:7]
	s_mov_b32 s14, 0
	s_cbranch_execnz .LBB13_82
.LBB13_81:                              ;   in Loop: Header=BB13_74 Depth=1
	global_load_dwordx2 v[6:7], v28, s[6:7]
	s_add_i32 s14, s8, -8
.LBB13_82:                              ;   in Loop: Header=BB13_74 Depth=1
	s_add_u32 s10, s0, 8
	s_addc_u32 s11, s1, 0
	s_cmp_gt_u32 s14, 7
	s_cbranch_scc1 .LBB13_86
; %bb.83:                               ;   in Loop: Header=BB13_74 Depth=1
	s_cmp_eq_u32 s14, 0
	s_cbranch_scc1 .LBB13_87
; %bb.84:                               ;   in Loop: Header=BB13_74 Depth=1
	v_mov_b32_e32 v12, 0
	s_mov_b64 s[10:11], 0
	v_mov_b32_e32 v13, 0
	s_mov_b64 s[12:13], 0
.LBB13_85:                              ;   Parent Loop BB13_74 Depth=1
                                        ; =>  This Inner Loop Header: Depth=2
	s_add_u32 s16, s0, s12
	s_addc_u32 s17, s1, s13
	global_load_ubyte v2, v28, s[16:17]
	s_add_u32 s12, s12, 1
	s_addc_u32 s13, s13, 0
	s_waitcnt vmcnt(0)
	v_and_b32_e32 v27, 0xffff, v2
	v_lshlrev_b64 v[2:3], s10, v[27:28]
	s_add_u32 s10, s10, 8
	s_addc_u32 s11, s11, 0
	v_or_b32_e32 v12, v2, v12
	s_cmp_lg_u32 s14, s12
	v_or_b32_e32 v13, v3, v13
	s_cbranch_scc1 .LBB13_85
	s_branch .LBB13_88
.LBB13_86:                              ;   in Loop: Header=BB13_74 Depth=1
                                        ; implicit-def: $vgpr12_vgpr13
	s_mov_b32 s15, 0
	s_branch .LBB13_89
.LBB13_87:                              ;   in Loop: Header=BB13_74 Depth=1
	v_mov_b32_e32 v12, 0
	v_mov_b32_e32 v13, 0
.LBB13_88:                              ;   in Loop: Header=BB13_74 Depth=1
	s_mov_b64 s[10:11], s[0:1]
	s_mov_b32 s15, 0
	s_cbranch_execnz .LBB13_90
.LBB13_89:                              ;   in Loop: Header=BB13_74 Depth=1
	global_load_dwordx2 v[12:13], v28, s[0:1]
	s_add_i32 s15, s14, -8
.LBB13_90:                              ;   in Loop: Header=BB13_74 Depth=1
	s_add_u32 s0, s10, 8
	s_addc_u32 s1, s11, 0
	s_cmp_gt_u32 s15, 7
	s_cbranch_scc1 .LBB13_94
; %bb.91:                               ;   in Loop: Header=BB13_74 Depth=1
	s_cmp_eq_u32 s15, 0
	s_cbranch_scc1 .LBB13_95
; %bb.92:                               ;   in Loop: Header=BB13_74 Depth=1
	v_mov_b32_e32 v14, 0
	s_mov_b64 s[0:1], 0
	v_mov_b32_e32 v15, 0
	s_mov_b64 s[12:13], 0
.LBB13_93:                              ;   Parent Loop BB13_74 Depth=1
                                        ; =>  This Inner Loop Header: Depth=2
	s_add_u32 s16, s10, s12
	s_addc_u32 s17, s11, s13
	global_load_ubyte v2, v28, s[16:17]
	s_add_u32 s12, s12, 1
	s_addc_u32 s13, s13, 0
	s_waitcnt vmcnt(0)
	v_and_b32_e32 v27, 0xffff, v2
	v_lshlrev_b64 v[2:3], s0, v[27:28]
	s_add_u32 s0, s0, 8
	s_addc_u32 s1, s1, 0
	v_or_b32_e32 v14, v2, v14
	s_cmp_lg_u32 s15, s12
	v_or_b32_e32 v15, v3, v15
	s_cbranch_scc1 .LBB13_93
	s_branch .LBB13_96
.LBB13_94:                              ;   in Loop: Header=BB13_74 Depth=1
	s_mov_b32 s14, 0
	s_branch .LBB13_97
.LBB13_95:                              ;   in Loop: Header=BB13_74 Depth=1
	v_mov_b32_e32 v14, 0
	v_mov_b32_e32 v15, 0
.LBB13_96:                              ;   in Loop: Header=BB13_74 Depth=1
	s_mov_b64 s[0:1], s[10:11]
	s_mov_b32 s14, 0
	s_cbranch_execnz .LBB13_98
.LBB13_97:                              ;   in Loop: Header=BB13_74 Depth=1
	global_load_dwordx2 v[14:15], v28, s[10:11]
	s_add_i32 s14, s15, -8
.LBB13_98:                              ;   in Loop: Header=BB13_74 Depth=1
	s_add_u32 s10, s0, 8
	s_addc_u32 s11, s1, 0
	s_cmp_gt_u32 s14, 7
	s_cbranch_scc1 .LBB13_102
; %bb.99:                               ;   in Loop: Header=BB13_74 Depth=1
	s_cmp_eq_u32 s14, 0
	s_cbranch_scc1 .LBB13_103
; %bb.100:                              ;   in Loop: Header=BB13_74 Depth=1
	v_mov_b32_e32 v16, 0
	s_mov_b64 s[10:11], 0
	v_mov_b32_e32 v17, 0
	s_mov_b64 s[12:13], 0
.LBB13_101:                             ;   Parent Loop BB13_74 Depth=1
                                        ; =>  This Inner Loop Header: Depth=2
	s_add_u32 s16, s0, s12
	s_addc_u32 s17, s1, s13
	global_load_ubyte v2, v28, s[16:17]
	s_add_u32 s12, s12, 1
	s_addc_u32 s13, s13, 0
	s_waitcnt vmcnt(0)
	v_and_b32_e32 v27, 0xffff, v2
	v_lshlrev_b64 v[2:3], s10, v[27:28]
	s_add_u32 s10, s10, 8
	s_addc_u32 s11, s11, 0
	v_or_b32_e32 v16, v2, v16
	s_cmp_lg_u32 s14, s12
	v_or_b32_e32 v17, v3, v17
	s_cbranch_scc1 .LBB13_101
	s_branch .LBB13_104
.LBB13_102:                             ;   in Loop: Header=BB13_74 Depth=1
                                        ; implicit-def: $vgpr16_vgpr17
	s_mov_b32 s15, 0
	s_branch .LBB13_105
.LBB13_103:                             ;   in Loop: Header=BB13_74 Depth=1
	v_mov_b32_e32 v16, 0
	v_mov_b32_e32 v17, 0
.LBB13_104:                             ;   in Loop: Header=BB13_74 Depth=1
	s_mov_b64 s[10:11], s[0:1]
	s_mov_b32 s15, 0
	s_cbranch_execnz .LBB13_106
.LBB13_105:                             ;   in Loop: Header=BB13_74 Depth=1
	global_load_dwordx2 v[16:17], v28, s[0:1]
	s_add_i32 s15, s14, -8
.LBB13_106:                             ;   in Loop: Header=BB13_74 Depth=1
	s_add_u32 s0, s10, 8
	s_addc_u32 s1, s11, 0
	s_cmp_gt_u32 s15, 7
	s_cbranch_scc1 .LBB13_110
; %bb.107:                              ;   in Loop: Header=BB13_74 Depth=1
	s_cmp_eq_u32 s15, 0
	s_cbranch_scc1 .LBB13_111
; %bb.108:                              ;   in Loop: Header=BB13_74 Depth=1
	v_mov_b32_e32 v18, 0
	s_mov_b64 s[0:1], 0
	v_mov_b32_e32 v19, 0
	s_mov_b64 s[12:13], 0
.LBB13_109:                             ;   Parent Loop BB13_74 Depth=1
                                        ; =>  This Inner Loop Header: Depth=2
	s_add_u32 s16, s10, s12
	s_addc_u32 s17, s11, s13
	global_load_ubyte v2, v28, s[16:17]
	s_add_u32 s12, s12, 1
	s_addc_u32 s13, s13, 0
	s_waitcnt vmcnt(0)
	v_and_b32_e32 v27, 0xffff, v2
	v_lshlrev_b64 v[2:3], s0, v[27:28]
	s_add_u32 s0, s0, 8
	s_addc_u32 s1, s1, 0
	v_or_b32_e32 v18, v2, v18
	s_cmp_lg_u32 s15, s12
	v_or_b32_e32 v19, v3, v19
	s_cbranch_scc1 .LBB13_109
	s_branch .LBB13_112
.LBB13_110:                             ;   in Loop: Header=BB13_74 Depth=1
	s_mov_b32 s14, 0
	s_branch .LBB13_113
.LBB13_111:                             ;   in Loop: Header=BB13_74 Depth=1
	v_mov_b32_e32 v18, 0
	v_mov_b32_e32 v19, 0
.LBB13_112:                             ;   in Loop: Header=BB13_74 Depth=1
	s_mov_b64 s[0:1], s[10:11]
	s_mov_b32 s14, 0
	s_cbranch_execnz .LBB13_114
.LBB13_113:                             ;   in Loop: Header=BB13_74 Depth=1
	global_load_dwordx2 v[18:19], v28, s[10:11]
	s_add_i32 s14, s15, -8
.LBB13_114:                             ;   in Loop: Header=BB13_74 Depth=1
	s_add_u32 s10, s0, 8
	s_addc_u32 s11, s1, 0
	s_cmp_gt_u32 s14, 7
	s_cbranch_scc1 .LBB13_118
; %bb.115:                              ;   in Loop: Header=BB13_74 Depth=1
	s_cmp_eq_u32 s14, 0
	s_cbranch_scc1 .LBB13_119
; %bb.116:                              ;   in Loop: Header=BB13_74 Depth=1
	v_mov_b32_e32 v20, 0
	s_mov_b64 s[10:11], 0
	v_mov_b32_e32 v21, 0
	s_mov_b64 s[12:13], 0
.LBB13_117:                             ;   Parent Loop BB13_74 Depth=1
                                        ; =>  This Inner Loop Header: Depth=2
	s_add_u32 s16, s0, s12
	s_addc_u32 s17, s1, s13
	global_load_ubyte v2, v28, s[16:17]
	s_add_u32 s12, s12, 1
	s_addc_u32 s13, s13, 0
	s_waitcnt vmcnt(0)
	v_and_b32_e32 v27, 0xffff, v2
	v_lshlrev_b64 v[2:3], s10, v[27:28]
	s_add_u32 s10, s10, 8
	s_addc_u32 s11, s11, 0
	v_or_b32_e32 v20, v2, v20
	s_cmp_lg_u32 s14, s12
	v_or_b32_e32 v21, v3, v21
	s_cbranch_scc1 .LBB13_117
	s_branch .LBB13_120
.LBB13_118:                             ;   in Loop: Header=BB13_74 Depth=1
                                        ; implicit-def: $vgpr20_vgpr21
	s_mov_b32 s15, 0
	s_branch .LBB13_121
.LBB13_119:                             ;   in Loop: Header=BB13_74 Depth=1
	v_mov_b32_e32 v20, 0
	v_mov_b32_e32 v21, 0
.LBB13_120:                             ;   in Loop: Header=BB13_74 Depth=1
	s_mov_b64 s[10:11], s[0:1]
	s_mov_b32 s15, 0
	s_cbranch_execnz .LBB13_122
.LBB13_121:                             ;   in Loop: Header=BB13_74 Depth=1
	global_load_dwordx2 v[20:21], v28, s[0:1]
	s_add_i32 s15, s14, -8
.LBB13_122:                             ;   in Loop: Header=BB13_74 Depth=1
	s_cmp_gt_u32 s15, 7
	s_cbranch_scc1 .LBB13_126
; %bb.123:                              ;   in Loop: Header=BB13_74 Depth=1
	s_cmp_eq_u32 s15, 0
	s_cbranch_scc1 .LBB13_127
; %bb.124:                              ;   in Loop: Header=BB13_74 Depth=1
	v_mov_b32_e32 v22, 0
	s_mov_b64 s[0:1], 0
	v_mov_b32_e32 v23, 0
	s_mov_b64 s[12:13], s[10:11]
.LBB13_125:                             ;   Parent Loop BB13_74 Depth=1
                                        ; =>  This Inner Loop Header: Depth=2
	global_load_ubyte v2, v28, s[12:13]
	s_add_i32 s15, s15, -1
	s_waitcnt vmcnt(0)
	v_and_b32_e32 v27, 0xffff, v2
	v_lshlrev_b64 v[2:3], s0, v[27:28]
	s_add_u32 s0, s0, 8
	s_addc_u32 s1, s1, 0
	s_add_u32 s12, s12, 1
	s_addc_u32 s13, s13, 0
	v_or_b32_e32 v22, v2, v22
	s_cmp_lg_u32 s15, 0
	v_or_b32_e32 v23, v3, v23
	s_cbranch_scc1 .LBB13_125
	s_branch .LBB13_128
.LBB13_126:                             ;   in Loop: Header=BB13_74 Depth=1
	s_branch .LBB13_129
.LBB13_127:                             ;   in Loop: Header=BB13_74 Depth=1
	v_mov_b32_e32 v22, 0
	v_mov_b32_e32 v23, 0
.LBB13_128:                             ;   in Loop: Header=BB13_74 Depth=1
	s_cbranch_execnz .LBB13_130
.LBB13_129:                             ;   in Loop: Header=BB13_74 Depth=1
	global_load_dwordx2 v[22:23], v28, s[10:11]
.LBB13_130:                             ;   in Loop: Header=BB13_74 Depth=1
	v_readfirstlane_b32 s0, v32
	v_mov_b32_e32 v2, 0
	v_mov_b32_e32 v3, 0
	v_cmp_eq_u32_e64 s[0:1], s0, v32
	s_and_saveexec_b64 s[10:11], s[0:1]
	s_cbranch_execz .LBB13_136
; %bb.131:                              ;   in Loop: Header=BB13_74 Depth=1
	global_load_dwordx2 v[26:27], v28, s[2:3] offset:24 glc
	s_waitcnt vmcnt(0)
	buffer_wbinvl1_vol
	global_load_dwordx2 v[2:3], v28, s[2:3] offset:40
	global_load_dwordx2 v[8:9], v28, s[2:3]
	s_waitcnt vmcnt(1)
	v_and_b32_e32 v2, v2, v26
	v_and_b32_e32 v3, v3, v27
	v_mul_lo_u32 v3, v3, 24
	v_mul_hi_u32 v24, v2, 24
	v_mul_lo_u32 v2, v2, 24
	v_add_u32_e32 v3, v24, v3
	s_waitcnt vmcnt(0)
	v_add_co_u32_e32 v2, vcc, v8, v2
	v_addc_co_u32_e32 v3, vcc, v9, v3, vcc
	global_load_dwordx2 v[24:25], v[2:3], off glc
	s_waitcnt vmcnt(0)
	global_atomic_cmpswap_x2 v[2:3], v28, v[24:27], s[2:3] offset:24 glc
	s_waitcnt vmcnt(0)
	buffer_wbinvl1_vol
	v_cmp_ne_u64_e32 vcc, v[2:3], v[26:27]
	s_and_saveexec_b64 s[12:13], vcc
	s_cbranch_execz .LBB13_135
; %bb.132:                              ;   in Loop: Header=BB13_74 Depth=1
	s_mov_b64 s[14:15], 0
.LBB13_133:                             ;   Parent Loop BB13_74 Depth=1
                                        ; =>  This Inner Loop Header: Depth=2
	s_sleep 1
	global_load_dwordx2 v[8:9], v28, s[2:3] offset:40
	global_load_dwordx2 v[24:25], v28, s[2:3]
	v_mov_b32_e32 v27, v3
	v_mov_b32_e32 v26, v2
	s_waitcnt vmcnt(1)
	v_and_b32_e32 v2, v8, v26
	s_waitcnt vmcnt(0)
	v_mad_u64_u32 v[2:3], s[16:17], v2, 24, v[24:25]
	v_and_b32_e32 v8, v9, v27
	v_mad_u64_u32 v[8:9], s[16:17], v8, 24, v[3:4]
	v_mov_b32_e32 v3, v8
	global_load_dwordx2 v[24:25], v[2:3], off glc
	s_waitcnt vmcnt(0)
	global_atomic_cmpswap_x2 v[2:3], v28, v[24:27], s[2:3] offset:24 glc
	s_waitcnt vmcnt(0)
	buffer_wbinvl1_vol
	v_cmp_eq_u64_e32 vcc, v[2:3], v[26:27]
	s_or_b64 s[14:15], vcc, s[14:15]
	s_andn2_b64 exec, exec, s[14:15]
	s_cbranch_execnz .LBB13_133
; %bb.134:                              ;   in Loop: Header=BB13_74 Depth=1
	s_or_b64 exec, exec, s[14:15]
.LBB13_135:                             ;   in Loop: Header=BB13_74 Depth=1
	s_or_b64 exec, exec, s[12:13]
.LBB13_136:                             ;   in Loop: Header=BB13_74 Depth=1
	s_or_b64 exec, exec, s[10:11]
	global_load_dwordx2 v[8:9], v28, s[2:3] offset:40
	global_load_dwordx4 v[24:27], v28, s[2:3]
	v_readfirstlane_b32 s11, v3
	v_readfirstlane_b32 s10, v2
	s_mov_b64 s[12:13], exec
	s_waitcnt vmcnt(1)
	v_readfirstlane_b32 s14, v8
	v_readfirstlane_b32 s15, v9
	s_and_b64 s[14:15], s[14:15], s[10:11]
	s_mul_i32 s16, s15, 24
	s_mul_hi_u32 s17, s14, 24
	s_mul_i32 s18, s14, 24
	s_add_i32 s16, s17, s16
	v_mov_b32_e32 v2, s16
	s_waitcnt vmcnt(0)
	v_add_co_u32_e32 v29, vcc, s18, v24
	v_addc_co_u32_e32 v30, vcc, v25, v2, vcc
	s_and_saveexec_b64 s[16:17], s[0:1]
	s_cbranch_execz .LBB13_138
; %bb.137:                              ;   in Loop: Header=BB13_74 Depth=1
	v_mov_b32_e32 v8, s12
	v_mov_b32_e32 v9, s13
	global_store_dwordx4 v[29:30], v[8:11], off offset:8
.LBB13_138:                             ;   in Loop: Header=BB13_74 Depth=1
	s_or_b64 exec, exec, s[16:17]
	s_lshl_b64 s[12:13], s[14:15], 12
	v_mov_b32_e32 v2, s13
	v_add_co_u32_e32 v8, vcc, s12, v26
	v_addc_co_u32_e32 v9, vcc, v27, v2, vcc
	v_cmp_lt_u64_e64 vcc, s[4:5], 57
	s_lshl_b32 s12, s8, 2
	v_cndmask_b32_e32 v2, 0, v33, vcc
	s_add_i32 s12, s12, 28
	v_and_b32_e32 v3, 0xffffff1f, v4
	s_and_b32 s12, s12, 0x1e0
	v_or_b32_e32 v2, v3, v2
	v_or_b32_e32 v4, s12, v2
	v_readfirstlane_b32 s12, v8
	v_readfirstlane_b32 s13, v9
	s_nop 4
	global_store_dwordx4 v31, v[4:7], s[12:13]
	global_store_dwordx4 v31, v[12:15], s[12:13] offset:16
	global_store_dwordx4 v31, v[16:19], s[12:13] offset:32
	;; [unrolled: 1-line block ×3, first 2 shown]
	s_and_saveexec_b64 s[12:13], s[0:1]
	s_cbranch_execz .LBB13_146
; %bb.139:                              ;   in Loop: Header=BB13_74 Depth=1
	global_load_dwordx2 v[14:15], v28, s[2:3] offset:32 glc
	global_load_dwordx2 v[2:3], v28, s[2:3] offset:40
	v_mov_b32_e32 v12, s10
	v_mov_b32_e32 v13, s11
	s_waitcnt vmcnt(0)
	v_readfirstlane_b32 s14, v2
	v_readfirstlane_b32 s15, v3
	s_and_b64 s[14:15], s[14:15], s[10:11]
	s_mul_i32 s15, s15, 24
	s_mul_hi_u32 s16, s14, 24
	s_mul_i32 s14, s14, 24
	s_add_i32 s15, s16, s15
	v_mov_b32_e32 v2, s15
	v_add_co_u32_e32 v6, vcc, s14, v24
	v_addc_co_u32_e32 v7, vcc, v25, v2, vcc
	global_store_dwordx2 v[6:7], v[14:15], off
	s_waitcnt vmcnt(0)
	global_atomic_cmpswap_x2 v[4:5], v28, v[12:15], s[2:3] offset:32 glc
	s_waitcnt vmcnt(0)
	v_cmp_ne_u64_e32 vcc, v[4:5], v[14:15]
	s_and_saveexec_b64 s[14:15], vcc
	s_cbranch_execz .LBB13_142
; %bb.140:                              ;   in Loop: Header=BB13_74 Depth=1
	s_mov_b64 s[16:17], 0
.LBB13_141:                             ;   Parent Loop BB13_74 Depth=1
                                        ; =>  This Inner Loop Header: Depth=2
	s_sleep 1
	global_store_dwordx2 v[6:7], v[4:5], off
	v_mov_b32_e32 v2, s10
	v_mov_b32_e32 v3, s11
	s_waitcnt vmcnt(0)
	global_atomic_cmpswap_x2 v[2:3], v28, v[2:5], s[2:3] offset:32 glc
	s_waitcnt vmcnt(0)
	v_cmp_eq_u64_e32 vcc, v[2:3], v[4:5]
	v_mov_b32_e32 v5, v3
	s_or_b64 s[16:17], vcc, s[16:17]
	v_mov_b32_e32 v4, v2
	s_andn2_b64 exec, exec, s[16:17]
	s_cbranch_execnz .LBB13_141
.LBB13_142:                             ;   in Loop: Header=BB13_74 Depth=1
	s_or_b64 exec, exec, s[14:15]
	global_load_dwordx2 v[2:3], v28, s[2:3] offset:16
	s_mov_b64 s[16:17], exec
	v_mbcnt_lo_u32_b32 v4, s16, 0
	v_mbcnt_hi_u32_b32 v4, s17, v4
	v_cmp_eq_u32_e32 vcc, 0, v4
	s_and_saveexec_b64 s[14:15], vcc
	s_cbranch_execz .LBB13_144
; %bb.143:                              ;   in Loop: Header=BB13_74 Depth=1
	s_bcnt1_i32_b64 s16, s[16:17]
	v_mov_b32_e32 v27, s16
	s_waitcnt vmcnt(0)
	global_atomic_add_x2 v[2:3], v[27:28], off offset:8
.LBB13_144:                             ;   in Loop: Header=BB13_74 Depth=1
	s_or_b64 exec, exec, s[14:15]
	s_waitcnt vmcnt(0)
	global_load_dwordx2 v[4:5], v[2:3], off offset:16
	s_waitcnt vmcnt(0)
	v_cmp_eq_u64_e32 vcc, 0, v[4:5]
	s_cbranch_vccnz .LBB13_146
; %bb.145:                              ;   in Loop: Header=BB13_74 Depth=1
	global_load_dword v27, v[2:3], off offset:24
	s_waitcnt vmcnt(0)
	v_readfirstlane_b32 s14, v27
	s_and_b32 m0, s14, 0xffffff
	global_store_dwordx2 v[4:5], v[27:28], off
	s_sendmsg sendmsg(MSG_INTERRUPT)
.LBB13_146:                             ;   in Loop: Header=BB13_74 Depth=1
	s_or_b64 exec, exec, s[12:13]
	v_add_co_u32_e32 v2, vcc, v8, v31
	v_addc_co_u32_e32 v3, vcc, 0, v9, vcc
	s_branch .LBB13_150
.LBB13_147:                             ;   in Loop: Header=BB13_150 Depth=2
	s_or_b64 exec, exec, s[12:13]
	v_readfirstlane_b32 s12, v4
	s_cmp_eq_u32 s12, 0
	s_cbranch_scc1 .LBB13_149
; %bb.148:                              ;   in Loop: Header=BB13_150 Depth=2
	s_sleep 1
	s_cbranch_execnz .LBB13_150
	s_branch .LBB13_152
.LBB13_149:                             ;   in Loop: Header=BB13_74 Depth=1
	s_branch .LBB13_152
.LBB13_150:                             ;   Parent Loop BB13_74 Depth=1
                                        ; =>  This Inner Loop Header: Depth=2
	v_mov_b32_e32 v4, 1
	s_and_saveexec_b64 s[12:13], s[0:1]
	s_cbranch_execz .LBB13_147
; %bb.151:                              ;   in Loop: Header=BB13_150 Depth=2
	global_load_dword v4, v[29:30], off offset:20 glc
	s_waitcnt vmcnt(0)
	buffer_wbinvl1_vol
	v_and_b32_e32 v4, 1, v4
	s_branch .LBB13_147
.LBB13_152:                             ;   in Loop: Header=BB13_74 Depth=1
	global_load_dwordx2 v[4:5], v[2:3], off
	s_and_saveexec_b64 s[12:13], s[0:1]
	s_cbranch_execz .LBB13_73
; %bb.153:                              ;   in Loop: Header=BB13_74 Depth=1
	global_load_dwordx2 v[2:3], v28, s[2:3] offset:40
	global_load_dwordx2 v[14:15], v28, s[2:3] offset:24 glc
	global_load_dwordx2 v[6:7], v28, s[2:3]
	s_waitcnt vmcnt(2)
	v_readfirstlane_b32 s14, v2
	v_readfirstlane_b32 s15, v3
	s_add_u32 s16, s14, 1
	s_addc_u32 s17, s15, 0
	s_add_u32 s0, s16, s10
	s_addc_u32 s1, s17, s11
	s_cmp_eq_u64 s[0:1], 0
	s_cselect_b32 s1, s17, s1
	s_cselect_b32 s0, s16, s0
	s_and_b64 s[10:11], s[0:1], s[14:15]
	s_mul_i32 s11, s11, 24
	s_mul_hi_u32 s14, s10, 24
	s_mul_i32 s10, s10, 24
	s_add_i32 s11, s14, s11
	v_mov_b32_e32 v3, s11
	s_waitcnt vmcnt(0)
	v_add_co_u32_e32 v2, vcc, s10, v6
	v_addc_co_u32_e32 v3, vcc, v7, v3, vcc
	v_mov_b32_e32 v12, s0
	global_store_dwordx2 v[2:3], v[14:15], off
	v_mov_b32_e32 v13, s1
	s_waitcnt vmcnt(0)
	global_atomic_cmpswap_x2 v[8:9], v28, v[12:15], s[2:3] offset:24 glc
	s_waitcnt vmcnt(0)
	v_cmp_ne_u64_e32 vcc, v[8:9], v[14:15]
	s_and_b64 exec, exec, vcc
	s_cbranch_execz .LBB13_73
; %bb.154:                              ;   in Loop: Header=BB13_74 Depth=1
	s_mov_b64 s[10:11], 0
.LBB13_155:                             ;   Parent Loop BB13_74 Depth=1
                                        ; =>  This Inner Loop Header: Depth=2
	s_sleep 1
	global_store_dwordx2 v[2:3], v[8:9], off
	v_mov_b32_e32 v6, s0
	v_mov_b32_e32 v7, s1
	s_waitcnt vmcnt(0)
	global_atomic_cmpswap_x2 v[6:7], v28, v[6:9], s[2:3] offset:24 glc
	s_waitcnt vmcnt(0)
	v_cmp_eq_u64_e32 vcc, v[6:7], v[8:9]
	v_mov_b32_e32 v9, v7
	s_or_b64 s[10:11], vcc, s[10:11]
	v_mov_b32_e32 v8, v6
	s_andn2_b64 exec, exec, s[10:11]
	s_cbranch_execnz .LBB13_155
	s_branch .LBB13_73
.LBB13_156:
	s_mov_b64 s[0:1], -1
                                        ; implicit-def: $vgpr4_vgpr5
	s_branch .LBB13_158
.LBB13_157:
	s_mov_b64 s[0:1], 0
.LBB13_158:
	s_and_b64 vcc, exec, s[0:1]
	s_cbranch_vccz .LBB13_185
; %bb.159:
	v_readfirstlane_b32 s0, v32
	v_mov_b32_e32 v8, 0
	v_mov_b32_e32 v9, 0
	v_cmp_eq_u32_e64 s[0:1], s0, v32
	s_and_saveexec_b64 s[4:5], s[0:1]
	s_cbranch_execz .LBB13_165
; %bb.160:
	v_mov_b32_e32 v2, 0
	global_load_dwordx2 v[5:6], v2, s[2:3] offset:24 glc
	s_waitcnt vmcnt(0)
	buffer_wbinvl1_vol
	global_load_dwordx2 v[3:4], v2, s[2:3] offset:40
	global_load_dwordx2 v[7:8], v2, s[2:3]
	s_waitcnt vmcnt(1)
	v_and_b32_e32 v3, v3, v5
	v_and_b32_e32 v4, v4, v6
	v_mul_lo_u32 v4, v4, 24
	v_mul_hi_u32 v9, v3, 24
	v_mul_lo_u32 v3, v3, 24
	v_add_u32_e32 v4, v9, v4
	s_waitcnt vmcnt(0)
	v_add_co_u32_e32 v3, vcc, v7, v3
	v_addc_co_u32_e32 v4, vcc, v8, v4, vcc
	global_load_dwordx2 v[3:4], v[3:4], off glc
	s_waitcnt vmcnt(0)
	global_atomic_cmpswap_x2 v[8:9], v2, v[3:6], s[2:3] offset:24 glc
	s_waitcnt vmcnt(0)
	buffer_wbinvl1_vol
	v_cmp_ne_u64_e32 vcc, v[8:9], v[5:6]
	s_and_saveexec_b64 s[6:7], vcc
	s_cbranch_execz .LBB13_164
; %bb.161:
	s_mov_b64 s[8:9], 0
.LBB13_162:                             ; =>This Inner Loop Header: Depth=1
	s_sleep 1
	global_load_dwordx2 v[3:4], v2, s[2:3] offset:40
	global_load_dwordx2 v[10:11], v2, s[2:3]
	v_mov_b32_e32 v5, v8
	v_mov_b32_e32 v6, v9
	s_waitcnt vmcnt(1)
	v_and_b32_e32 v3, v3, v5
	s_waitcnt vmcnt(0)
	v_mad_u64_u32 v[7:8], s[10:11], v3, 24, v[10:11]
	v_and_b32_e32 v4, v4, v6
	v_mov_b32_e32 v3, v8
	v_mad_u64_u32 v[3:4], s[10:11], v4, 24, v[3:4]
	v_mov_b32_e32 v8, v3
	global_load_dwordx2 v[3:4], v[7:8], off glc
	s_waitcnt vmcnt(0)
	global_atomic_cmpswap_x2 v[8:9], v2, v[3:6], s[2:3] offset:24 glc
	s_waitcnt vmcnt(0)
	buffer_wbinvl1_vol
	v_cmp_eq_u64_e32 vcc, v[8:9], v[5:6]
	s_or_b64 s[8:9], vcc, s[8:9]
	s_andn2_b64 exec, exec, s[8:9]
	s_cbranch_execnz .LBB13_162
; %bb.163:
	s_or_b64 exec, exec, s[8:9]
.LBB13_164:
	s_or_b64 exec, exec, s[6:7]
.LBB13_165:
	s_or_b64 exec, exec, s[4:5]
	v_mov_b32_e32 v2, 0
	global_load_dwordx2 v[10:11], v2, s[2:3] offset:40
	global_load_dwordx4 v[4:7], v2, s[2:3]
	v_readfirstlane_b32 s5, v9
	v_readfirstlane_b32 s4, v8
	s_mov_b64 s[6:7], exec
	s_waitcnt vmcnt(1)
	v_readfirstlane_b32 s8, v10
	v_readfirstlane_b32 s9, v11
	s_and_b64 s[8:9], s[8:9], s[4:5]
	s_mul_i32 s10, s9, 24
	s_mul_hi_u32 s11, s8, 24
	s_mul_i32 s12, s8, 24
	s_add_i32 s10, s11, s10
	v_mov_b32_e32 v3, s10
	s_waitcnt vmcnt(0)
	v_add_co_u32_e32 v8, vcc, s12, v4
	v_addc_co_u32_e32 v9, vcc, v5, v3, vcc
	s_and_saveexec_b64 s[10:11], s[0:1]
	s_cbranch_execz .LBB13_167
; %bb.166:
	v_mov_b32_e32 v11, s7
	v_mov_b32_e32 v10, s6
	;; [unrolled: 1-line block ×4, first 2 shown]
	global_store_dwordx4 v[8:9], v[10:13], off offset:8
.LBB13_167:
	s_or_b64 exec, exec, s[10:11]
	s_lshl_b64 s[6:7], s[8:9], 12
	v_mov_b32_e32 v3, s7
	v_add_co_u32_e32 v10, vcc, s6, v6
	v_addc_co_u32_e32 v11, vcc, v7, v3, vcc
	s_movk_i32 s6, 0xff1f
	v_and_or_b32 v0, v0, s6, 32
	s_mov_b32 s8, 0
	v_mov_b32_e32 v3, v2
	v_readfirstlane_b32 s6, v10
	v_readfirstlane_b32 s7, v11
	v_add_co_u32_e32 v6, vcc, v10, v31
	s_mov_b32 s9, s8
	s_mov_b32 s10, s8
	;; [unrolled: 1-line block ×3, first 2 shown]
	s_nop 0
	global_store_dwordx4 v31, v[0:3], s[6:7]
	v_addc_co_u32_e32 v7, vcc, 0, v11, vcc
	v_mov_b32_e32 v0, s8
	v_mov_b32_e32 v1, s9
	;; [unrolled: 1-line block ×4, first 2 shown]
	global_store_dwordx4 v31, v[0:3], s[6:7] offset:16
	global_store_dwordx4 v31, v[0:3], s[6:7] offset:32
	;; [unrolled: 1-line block ×3, first 2 shown]
	s_and_saveexec_b64 s[6:7], s[0:1]
	s_cbranch_execz .LBB13_175
; %bb.168:
	v_mov_b32_e32 v10, 0
	global_load_dwordx2 v[13:14], v10, s[2:3] offset:32 glc
	global_load_dwordx2 v[0:1], v10, s[2:3] offset:40
	v_mov_b32_e32 v11, s4
	v_mov_b32_e32 v12, s5
	s_waitcnt vmcnt(0)
	v_readfirstlane_b32 s8, v0
	v_readfirstlane_b32 s9, v1
	s_and_b64 s[8:9], s[8:9], s[4:5]
	s_mul_i32 s9, s9, 24
	s_mul_hi_u32 s10, s8, 24
	s_mul_i32 s8, s8, 24
	s_add_i32 s9, s10, s9
	v_mov_b32_e32 v0, s9
	v_add_co_u32_e32 v4, vcc, s8, v4
	v_addc_co_u32_e32 v5, vcc, v5, v0, vcc
	global_store_dwordx2 v[4:5], v[13:14], off
	s_waitcnt vmcnt(0)
	global_atomic_cmpswap_x2 v[2:3], v10, v[11:14], s[2:3] offset:32 glc
	s_waitcnt vmcnt(0)
	v_cmp_ne_u64_e32 vcc, v[2:3], v[13:14]
	s_and_saveexec_b64 s[8:9], vcc
	s_cbranch_execz .LBB13_171
; %bb.169:
	s_mov_b64 s[10:11], 0
.LBB13_170:                             ; =>This Inner Loop Header: Depth=1
	s_sleep 1
	global_store_dwordx2 v[4:5], v[2:3], off
	v_mov_b32_e32 v0, s4
	v_mov_b32_e32 v1, s5
	s_waitcnt vmcnt(0)
	global_atomic_cmpswap_x2 v[0:1], v10, v[0:3], s[2:3] offset:32 glc
	s_waitcnt vmcnt(0)
	v_cmp_eq_u64_e32 vcc, v[0:1], v[2:3]
	v_mov_b32_e32 v3, v1
	s_or_b64 s[10:11], vcc, s[10:11]
	v_mov_b32_e32 v2, v0
	s_andn2_b64 exec, exec, s[10:11]
	s_cbranch_execnz .LBB13_170
.LBB13_171:
	s_or_b64 exec, exec, s[8:9]
	v_mov_b32_e32 v3, 0
	global_load_dwordx2 v[0:1], v3, s[2:3] offset:16
	s_mov_b64 s[8:9], exec
	v_mbcnt_lo_u32_b32 v2, s8, 0
	v_mbcnt_hi_u32_b32 v2, s9, v2
	v_cmp_eq_u32_e32 vcc, 0, v2
	s_and_saveexec_b64 s[10:11], vcc
	s_cbranch_execz .LBB13_173
; %bb.172:
	s_bcnt1_i32_b64 s8, s[8:9]
	v_mov_b32_e32 v2, s8
	s_waitcnt vmcnt(0)
	global_atomic_add_x2 v[0:1], v[2:3], off offset:8
.LBB13_173:
	s_or_b64 exec, exec, s[10:11]
	s_waitcnt vmcnt(0)
	global_load_dwordx2 v[2:3], v[0:1], off offset:16
	s_waitcnt vmcnt(0)
	v_cmp_eq_u64_e32 vcc, 0, v[2:3]
	s_cbranch_vccnz .LBB13_175
; %bb.174:
	global_load_dword v0, v[0:1], off offset:24
	v_mov_b32_e32 v1, 0
	s_waitcnt vmcnt(0)
	v_readfirstlane_b32 s8, v0
	s_and_b32 m0, s8, 0xffffff
	global_store_dwordx2 v[2:3], v[0:1], off
	s_sendmsg sendmsg(MSG_INTERRUPT)
.LBB13_175:
	s_or_b64 exec, exec, s[6:7]
	s_branch .LBB13_179
.LBB13_176:                             ;   in Loop: Header=BB13_179 Depth=1
	s_or_b64 exec, exec, s[6:7]
	v_readfirstlane_b32 s6, v0
	s_cmp_eq_u32 s6, 0
	s_cbranch_scc1 .LBB13_178
; %bb.177:                              ;   in Loop: Header=BB13_179 Depth=1
	s_sleep 1
	s_cbranch_execnz .LBB13_179
	s_branch .LBB13_181
.LBB13_178:
	s_branch .LBB13_181
.LBB13_179:                             ; =>This Inner Loop Header: Depth=1
	v_mov_b32_e32 v0, 1
	s_and_saveexec_b64 s[6:7], s[0:1]
	s_cbranch_execz .LBB13_176
; %bb.180:                              ;   in Loop: Header=BB13_179 Depth=1
	global_load_dword v0, v[8:9], off offset:20 glc
	s_waitcnt vmcnt(0)
	buffer_wbinvl1_vol
	v_and_b32_e32 v0, 1, v0
	s_branch .LBB13_176
.LBB13_181:
	global_load_dwordx2 v[4:5], v[6:7], off
	s_and_saveexec_b64 s[6:7], s[0:1]
	s_cbranch_execz .LBB13_184
; %bb.182:
	v_mov_b32_e32 v8, 0
	global_load_dwordx2 v[0:1], v8, s[2:3] offset:40
	global_load_dwordx2 v[11:12], v8, s[2:3] offset:24 glc
	global_load_dwordx2 v[2:3], v8, s[2:3]
	s_waitcnt vmcnt(2)
	v_readfirstlane_b32 s8, v0
	v_readfirstlane_b32 s9, v1
	s_add_u32 s10, s8, 1
	s_addc_u32 s11, s9, 0
	s_add_u32 s0, s10, s4
	s_addc_u32 s1, s11, s5
	s_cmp_eq_u64 s[0:1], 0
	s_cselect_b32 s1, s11, s1
	s_cselect_b32 s0, s10, s0
	s_and_b64 s[4:5], s[0:1], s[8:9]
	s_mul_i32 s5, s5, 24
	s_mul_hi_u32 s8, s4, 24
	s_mul_i32 s4, s4, 24
	s_add_i32 s5, s8, s5
	v_mov_b32_e32 v0, s5
	s_waitcnt vmcnt(0)
	v_add_co_u32_e32 v6, vcc, s4, v2
	v_addc_co_u32_e32 v7, vcc, v3, v0, vcc
	v_mov_b32_e32 v9, s0
	global_store_dwordx2 v[6:7], v[11:12], off
	v_mov_b32_e32 v10, s1
	s_waitcnt vmcnt(0)
	global_atomic_cmpswap_x2 v[2:3], v8, v[9:12], s[2:3] offset:24 glc
	s_mov_b64 s[4:5], 0
	s_waitcnt vmcnt(0)
	v_cmp_ne_u64_e32 vcc, v[2:3], v[11:12]
	s_and_b64 exec, exec, vcc
	s_cbranch_execz .LBB13_184
.LBB13_183:                             ; =>This Inner Loop Header: Depth=1
	s_sleep 1
	global_store_dwordx2 v[6:7], v[2:3], off
	v_mov_b32_e32 v0, s0
	v_mov_b32_e32 v1, s1
	s_waitcnt vmcnt(0)
	global_atomic_cmpswap_x2 v[0:1], v8, v[0:3], s[2:3] offset:24 glc
	s_waitcnt vmcnt(0)
	v_cmp_eq_u64_e32 vcc, v[0:1], v[2:3]
	v_mov_b32_e32 v3, v1
	s_or_b64 s[4:5], vcc, s[4:5]
	v_mov_b32_e32 v2, v0
	s_andn2_b64 exec, exec, s[4:5]
	s_cbranch_execnz .LBB13_183
.LBB13_184:
	s_or_b64 exec, exec, s[6:7]
.LBB13_185:
	s_getpc_b64 s[4:5]
	s_add_u32 s4, s4, .str.1@rel32@lo+4
	s_addc_u32 s5, s5, .str.1@rel32@hi+12
	s_cmp_lg_u64 s[4:5], 0
	s_cbranch_scc0 .LBB13_270
; %bb.186:
	s_waitcnt vmcnt(0)
	v_and_b32_e32 v29, 2, v4
	v_mov_b32_e32 v26, 0
	v_and_b32_e32 v0, -3, v4
	v_mov_b32_e32 v1, v5
	s_mov_b64 s[6:7], 0x61
	v_mov_b32_e32 v8, 2
	v_mov_b32_e32 v9, 1
	s_branch .LBB13_188
.LBB13_187:                             ;   in Loop: Header=BB13_188 Depth=1
	s_or_b64 exec, exec, s[12:13]
	s_sub_u32 s6, s6, s8
	s_subb_u32 s7, s7, s9
	s_add_u32 s4, s4, s8
	s_addc_u32 s5, s5, s9
	s_cmp_lg_u64 s[6:7], 0
	s_cbranch_scc0 .LBB13_271
.LBB13_188:                             ; =>This Loop Header: Depth=1
                                        ;     Child Loop BB13_191 Depth 2
                                        ;     Child Loop BB13_199 Depth 2
	;; [unrolled: 1-line block ×11, first 2 shown]
	v_cmp_lt_u64_e64 s[0:1], s[6:7], 56
	v_cmp_gt_u64_e64 s[10:11], s[6:7], 7
	s_and_b64 s[0:1], s[0:1], exec
	s_cselect_b32 s9, s7, 0
	s_cselect_b32 s8, s6, 56
	s_add_u32 s0, s4, 8
	s_addc_u32 s1, s5, 0
	s_and_b64 vcc, exec, s[10:11]
	s_cbranch_vccnz .LBB13_192
; %bb.189:                              ;   in Loop: Header=BB13_188 Depth=1
	s_cmp_eq_u64 s[6:7], 0
	s_cbranch_scc1 .LBB13_193
; %bb.190:                              ;   in Loop: Header=BB13_188 Depth=1
	v_mov_b32_e32 v2, 0
	s_lshl_b64 s[0:1], s[8:9], 3
	s_mov_b64 s[10:11], 0
	v_mov_b32_e32 v3, 0
	s_mov_b64 s[12:13], s[4:5]
.LBB13_191:                             ;   Parent Loop BB13_188 Depth=1
                                        ; =>  This Inner Loop Header: Depth=2
	global_load_ubyte v6, v26, s[12:13]
	s_waitcnt vmcnt(0)
	v_and_b32_e32 v25, 0xffff, v6
	v_lshlrev_b64 v[6:7], s10, v[25:26]
	s_add_u32 s10, s10, 8
	s_addc_u32 s11, s11, 0
	s_add_u32 s12, s12, 1
	s_addc_u32 s13, s13, 0
	v_or_b32_e32 v2, v6, v2
	s_cmp_lg_u32 s0, s10
	v_or_b32_e32 v3, v7, v3
	s_cbranch_scc1 .LBB13_191
	s_branch .LBB13_194
.LBB13_192:                             ;   in Loop: Header=BB13_188 Depth=1
	s_mov_b32 s14, 0
	s_branch .LBB13_195
.LBB13_193:                             ;   in Loop: Header=BB13_188 Depth=1
	v_mov_b32_e32 v2, 0
	v_mov_b32_e32 v3, 0
.LBB13_194:                             ;   in Loop: Header=BB13_188 Depth=1
	s_mov_b64 s[0:1], s[4:5]
	s_mov_b32 s14, 0
	s_cbranch_execnz .LBB13_196
.LBB13_195:                             ;   in Loop: Header=BB13_188 Depth=1
	global_load_dwordx2 v[2:3], v26, s[4:5]
	s_add_i32 s14, s8, -8
.LBB13_196:                             ;   in Loop: Header=BB13_188 Depth=1
	s_add_u32 s10, s0, 8
	s_addc_u32 s11, s1, 0
	s_cmp_gt_u32 s14, 7
	s_cbranch_scc1 .LBB13_200
; %bb.197:                              ;   in Loop: Header=BB13_188 Depth=1
	s_cmp_eq_u32 s14, 0
	s_cbranch_scc1 .LBB13_201
; %bb.198:                              ;   in Loop: Header=BB13_188 Depth=1
	v_mov_b32_e32 v10, 0
	s_mov_b64 s[10:11], 0
	v_mov_b32_e32 v11, 0
	s_mov_b64 s[12:13], 0
.LBB13_199:                             ;   Parent Loop BB13_188 Depth=1
                                        ; =>  This Inner Loop Header: Depth=2
	s_add_u32 s16, s0, s12
	s_addc_u32 s17, s1, s13
	global_load_ubyte v6, v26, s[16:17]
	s_add_u32 s12, s12, 1
	s_addc_u32 s13, s13, 0
	s_waitcnt vmcnt(0)
	v_and_b32_e32 v25, 0xffff, v6
	v_lshlrev_b64 v[6:7], s10, v[25:26]
	s_add_u32 s10, s10, 8
	s_addc_u32 s11, s11, 0
	v_or_b32_e32 v10, v6, v10
	s_cmp_lg_u32 s14, s12
	v_or_b32_e32 v11, v7, v11
	s_cbranch_scc1 .LBB13_199
	s_branch .LBB13_202
.LBB13_200:                             ;   in Loop: Header=BB13_188 Depth=1
                                        ; implicit-def: $vgpr10_vgpr11
	s_mov_b32 s15, 0
	s_branch .LBB13_203
.LBB13_201:                             ;   in Loop: Header=BB13_188 Depth=1
	v_mov_b32_e32 v10, 0
	v_mov_b32_e32 v11, 0
.LBB13_202:                             ;   in Loop: Header=BB13_188 Depth=1
	s_mov_b64 s[10:11], s[0:1]
	s_mov_b32 s15, 0
	s_cbranch_execnz .LBB13_204
.LBB13_203:                             ;   in Loop: Header=BB13_188 Depth=1
	global_load_dwordx2 v[10:11], v26, s[0:1]
	s_add_i32 s15, s14, -8
.LBB13_204:                             ;   in Loop: Header=BB13_188 Depth=1
	s_add_u32 s0, s10, 8
	s_addc_u32 s1, s11, 0
	s_cmp_gt_u32 s15, 7
	s_cbranch_scc1 .LBB13_208
; %bb.205:                              ;   in Loop: Header=BB13_188 Depth=1
	s_cmp_eq_u32 s15, 0
	s_cbranch_scc1 .LBB13_209
; %bb.206:                              ;   in Loop: Header=BB13_188 Depth=1
	v_mov_b32_e32 v12, 0
	s_mov_b64 s[0:1], 0
	v_mov_b32_e32 v13, 0
	s_mov_b64 s[12:13], 0
.LBB13_207:                             ;   Parent Loop BB13_188 Depth=1
                                        ; =>  This Inner Loop Header: Depth=2
	s_add_u32 s16, s10, s12
	s_addc_u32 s17, s11, s13
	global_load_ubyte v6, v26, s[16:17]
	s_add_u32 s12, s12, 1
	s_addc_u32 s13, s13, 0
	s_waitcnt vmcnt(0)
	v_and_b32_e32 v25, 0xffff, v6
	v_lshlrev_b64 v[6:7], s0, v[25:26]
	s_add_u32 s0, s0, 8
	s_addc_u32 s1, s1, 0
	v_or_b32_e32 v12, v6, v12
	s_cmp_lg_u32 s15, s12
	v_or_b32_e32 v13, v7, v13
	s_cbranch_scc1 .LBB13_207
	s_branch .LBB13_210
.LBB13_208:                             ;   in Loop: Header=BB13_188 Depth=1
	s_mov_b32 s14, 0
	s_branch .LBB13_211
.LBB13_209:                             ;   in Loop: Header=BB13_188 Depth=1
	v_mov_b32_e32 v12, 0
	v_mov_b32_e32 v13, 0
.LBB13_210:                             ;   in Loop: Header=BB13_188 Depth=1
	s_mov_b64 s[0:1], s[10:11]
	s_mov_b32 s14, 0
	s_cbranch_execnz .LBB13_212
.LBB13_211:                             ;   in Loop: Header=BB13_188 Depth=1
	global_load_dwordx2 v[12:13], v26, s[10:11]
	s_add_i32 s14, s15, -8
.LBB13_212:                             ;   in Loop: Header=BB13_188 Depth=1
	s_add_u32 s10, s0, 8
	s_addc_u32 s11, s1, 0
	s_cmp_gt_u32 s14, 7
	s_cbranch_scc1 .LBB13_216
; %bb.213:                              ;   in Loop: Header=BB13_188 Depth=1
	s_cmp_eq_u32 s14, 0
	s_cbranch_scc1 .LBB13_217
; %bb.214:                              ;   in Loop: Header=BB13_188 Depth=1
	v_mov_b32_e32 v14, 0
	s_mov_b64 s[10:11], 0
	v_mov_b32_e32 v15, 0
	s_mov_b64 s[12:13], 0
.LBB13_215:                             ;   Parent Loop BB13_188 Depth=1
                                        ; =>  This Inner Loop Header: Depth=2
	s_add_u32 s16, s0, s12
	s_addc_u32 s17, s1, s13
	global_load_ubyte v6, v26, s[16:17]
	s_add_u32 s12, s12, 1
	s_addc_u32 s13, s13, 0
	s_waitcnt vmcnt(0)
	v_and_b32_e32 v25, 0xffff, v6
	v_lshlrev_b64 v[6:7], s10, v[25:26]
	s_add_u32 s10, s10, 8
	s_addc_u32 s11, s11, 0
	v_or_b32_e32 v14, v6, v14
	s_cmp_lg_u32 s14, s12
	v_or_b32_e32 v15, v7, v15
	s_cbranch_scc1 .LBB13_215
	s_branch .LBB13_218
.LBB13_216:                             ;   in Loop: Header=BB13_188 Depth=1
                                        ; implicit-def: $vgpr14_vgpr15
	s_mov_b32 s15, 0
	s_branch .LBB13_219
.LBB13_217:                             ;   in Loop: Header=BB13_188 Depth=1
	v_mov_b32_e32 v14, 0
	v_mov_b32_e32 v15, 0
.LBB13_218:                             ;   in Loop: Header=BB13_188 Depth=1
	s_mov_b64 s[10:11], s[0:1]
	s_mov_b32 s15, 0
	s_cbranch_execnz .LBB13_220
.LBB13_219:                             ;   in Loop: Header=BB13_188 Depth=1
	global_load_dwordx2 v[14:15], v26, s[0:1]
	s_add_i32 s15, s14, -8
.LBB13_220:                             ;   in Loop: Header=BB13_188 Depth=1
	s_add_u32 s0, s10, 8
	s_addc_u32 s1, s11, 0
	s_cmp_gt_u32 s15, 7
	s_cbranch_scc1 .LBB13_224
; %bb.221:                              ;   in Loop: Header=BB13_188 Depth=1
	s_cmp_eq_u32 s15, 0
	s_cbranch_scc1 .LBB13_225
; %bb.222:                              ;   in Loop: Header=BB13_188 Depth=1
	v_mov_b32_e32 v16, 0
	s_mov_b64 s[0:1], 0
	v_mov_b32_e32 v17, 0
	s_mov_b64 s[12:13], 0
.LBB13_223:                             ;   Parent Loop BB13_188 Depth=1
                                        ; =>  This Inner Loop Header: Depth=2
	s_add_u32 s16, s10, s12
	s_addc_u32 s17, s11, s13
	global_load_ubyte v6, v26, s[16:17]
	s_add_u32 s12, s12, 1
	s_addc_u32 s13, s13, 0
	s_waitcnt vmcnt(0)
	v_and_b32_e32 v25, 0xffff, v6
	v_lshlrev_b64 v[6:7], s0, v[25:26]
	s_add_u32 s0, s0, 8
	s_addc_u32 s1, s1, 0
	v_or_b32_e32 v16, v6, v16
	s_cmp_lg_u32 s15, s12
	v_or_b32_e32 v17, v7, v17
	s_cbranch_scc1 .LBB13_223
	s_branch .LBB13_226
.LBB13_224:                             ;   in Loop: Header=BB13_188 Depth=1
	s_mov_b32 s14, 0
	s_branch .LBB13_227
.LBB13_225:                             ;   in Loop: Header=BB13_188 Depth=1
	v_mov_b32_e32 v16, 0
	v_mov_b32_e32 v17, 0
.LBB13_226:                             ;   in Loop: Header=BB13_188 Depth=1
	s_mov_b64 s[0:1], s[10:11]
	s_mov_b32 s14, 0
	s_cbranch_execnz .LBB13_228
.LBB13_227:                             ;   in Loop: Header=BB13_188 Depth=1
	global_load_dwordx2 v[16:17], v26, s[10:11]
	s_add_i32 s14, s15, -8
.LBB13_228:                             ;   in Loop: Header=BB13_188 Depth=1
	s_add_u32 s10, s0, 8
	s_addc_u32 s11, s1, 0
	s_cmp_gt_u32 s14, 7
	s_cbranch_scc1 .LBB13_232
; %bb.229:                              ;   in Loop: Header=BB13_188 Depth=1
	s_cmp_eq_u32 s14, 0
	s_cbranch_scc1 .LBB13_233
; %bb.230:                              ;   in Loop: Header=BB13_188 Depth=1
	v_mov_b32_e32 v18, 0
	s_mov_b64 s[10:11], 0
	v_mov_b32_e32 v19, 0
	s_mov_b64 s[12:13], 0
.LBB13_231:                             ;   Parent Loop BB13_188 Depth=1
                                        ; =>  This Inner Loop Header: Depth=2
	s_add_u32 s16, s0, s12
	s_addc_u32 s17, s1, s13
	global_load_ubyte v6, v26, s[16:17]
	s_add_u32 s12, s12, 1
	s_addc_u32 s13, s13, 0
	s_waitcnt vmcnt(0)
	v_and_b32_e32 v25, 0xffff, v6
	v_lshlrev_b64 v[6:7], s10, v[25:26]
	s_add_u32 s10, s10, 8
	s_addc_u32 s11, s11, 0
	v_or_b32_e32 v18, v6, v18
	s_cmp_lg_u32 s14, s12
	v_or_b32_e32 v19, v7, v19
	s_cbranch_scc1 .LBB13_231
	s_branch .LBB13_234
.LBB13_232:                             ;   in Loop: Header=BB13_188 Depth=1
                                        ; implicit-def: $vgpr18_vgpr19
	s_mov_b32 s15, 0
	s_branch .LBB13_235
.LBB13_233:                             ;   in Loop: Header=BB13_188 Depth=1
	v_mov_b32_e32 v18, 0
	v_mov_b32_e32 v19, 0
.LBB13_234:                             ;   in Loop: Header=BB13_188 Depth=1
	s_mov_b64 s[10:11], s[0:1]
	s_mov_b32 s15, 0
	s_cbranch_execnz .LBB13_236
.LBB13_235:                             ;   in Loop: Header=BB13_188 Depth=1
	global_load_dwordx2 v[18:19], v26, s[0:1]
	s_add_i32 s15, s14, -8
.LBB13_236:                             ;   in Loop: Header=BB13_188 Depth=1
	s_cmp_gt_u32 s15, 7
	s_cbranch_scc1 .LBB13_240
; %bb.237:                              ;   in Loop: Header=BB13_188 Depth=1
	s_cmp_eq_u32 s15, 0
	s_cbranch_scc1 .LBB13_241
; %bb.238:                              ;   in Loop: Header=BB13_188 Depth=1
	v_mov_b32_e32 v20, 0
	s_mov_b64 s[0:1], 0
	v_mov_b32_e32 v21, 0
	s_mov_b64 s[12:13], s[10:11]
.LBB13_239:                             ;   Parent Loop BB13_188 Depth=1
                                        ; =>  This Inner Loop Header: Depth=2
	global_load_ubyte v6, v26, s[12:13]
	s_add_i32 s15, s15, -1
	s_waitcnt vmcnt(0)
	v_and_b32_e32 v25, 0xffff, v6
	v_lshlrev_b64 v[6:7], s0, v[25:26]
	s_add_u32 s0, s0, 8
	s_addc_u32 s1, s1, 0
	s_add_u32 s12, s12, 1
	s_addc_u32 s13, s13, 0
	v_or_b32_e32 v20, v6, v20
	s_cmp_lg_u32 s15, 0
	v_or_b32_e32 v21, v7, v21
	s_cbranch_scc1 .LBB13_239
	s_branch .LBB13_242
.LBB13_240:                             ;   in Loop: Header=BB13_188 Depth=1
	s_branch .LBB13_243
.LBB13_241:                             ;   in Loop: Header=BB13_188 Depth=1
	v_mov_b32_e32 v20, 0
	v_mov_b32_e32 v21, 0
.LBB13_242:                             ;   in Loop: Header=BB13_188 Depth=1
	s_cbranch_execnz .LBB13_244
.LBB13_243:                             ;   in Loop: Header=BB13_188 Depth=1
	global_load_dwordx2 v[20:21], v26, s[10:11]
.LBB13_244:                             ;   in Loop: Header=BB13_188 Depth=1
	v_readfirstlane_b32 s0, v32
	v_mov_b32_e32 v6, 0
	v_mov_b32_e32 v7, 0
	v_cmp_eq_u32_e64 s[0:1], s0, v32
	s_and_saveexec_b64 s[10:11], s[0:1]
	s_cbranch_execz .LBB13_250
; %bb.245:                              ;   in Loop: Header=BB13_188 Depth=1
	global_load_dwordx2 v[24:25], v26, s[2:3] offset:24 glc
	s_waitcnt vmcnt(0)
	buffer_wbinvl1_vol
	global_load_dwordx2 v[6:7], v26, s[2:3] offset:40
	global_load_dwordx2 v[22:23], v26, s[2:3]
	s_waitcnt vmcnt(1)
	v_and_b32_e32 v6, v6, v24
	v_and_b32_e32 v7, v7, v25
	v_mul_lo_u32 v7, v7, 24
	v_mul_hi_u32 v27, v6, 24
	v_mul_lo_u32 v6, v6, 24
	v_add_u32_e32 v7, v27, v7
	s_waitcnt vmcnt(0)
	v_add_co_u32_e32 v6, vcc, v22, v6
	v_addc_co_u32_e32 v7, vcc, v23, v7, vcc
	global_load_dwordx2 v[22:23], v[6:7], off glc
	s_waitcnt vmcnt(0)
	global_atomic_cmpswap_x2 v[6:7], v26, v[22:25], s[2:3] offset:24 glc
	s_waitcnt vmcnt(0)
	buffer_wbinvl1_vol
	v_cmp_ne_u64_e32 vcc, v[6:7], v[24:25]
	s_and_saveexec_b64 s[12:13], vcc
	s_cbranch_execz .LBB13_249
; %bb.246:                              ;   in Loop: Header=BB13_188 Depth=1
	s_mov_b64 s[14:15], 0
.LBB13_247:                             ;   Parent Loop BB13_188 Depth=1
                                        ; =>  This Inner Loop Header: Depth=2
	s_sleep 1
	global_load_dwordx2 v[22:23], v26, s[2:3] offset:40
	global_load_dwordx2 v[27:28], v26, s[2:3]
	v_mov_b32_e32 v25, v7
	v_mov_b32_e32 v24, v6
	s_waitcnt vmcnt(1)
	v_and_b32_e32 v6, v22, v24
	s_waitcnt vmcnt(0)
	v_mad_u64_u32 v[6:7], s[16:17], v6, 24, v[27:28]
	v_and_b32_e32 v22, v23, v25
	v_mad_u64_u32 v[22:23], s[16:17], v22, 24, v[7:8]
	v_mov_b32_e32 v7, v22
	global_load_dwordx2 v[22:23], v[6:7], off glc
	s_waitcnt vmcnt(0)
	global_atomic_cmpswap_x2 v[6:7], v26, v[22:25], s[2:3] offset:24 glc
	s_waitcnt vmcnt(0)
	buffer_wbinvl1_vol
	v_cmp_eq_u64_e32 vcc, v[6:7], v[24:25]
	s_or_b64 s[14:15], vcc, s[14:15]
	s_andn2_b64 exec, exec, s[14:15]
	s_cbranch_execnz .LBB13_247
; %bb.248:                              ;   in Loop: Header=BB13_188 Depth=1
	s_or_b64 exec, exec, s[14:15]
.LBB13_249:                             ;   in Loop: Header=BB13_188 Depth=1
	s_or_b64 exec, exec, s[12:13]
.LBB13_250:                             ;   in Loop: Header=BB13_188 Depth=1
	s_or_b64 exec, exec, s[10:11]
	global_load_dwordx2 v[27:28], v26, s[2:3] offset:40
	global_load_dwordx4 v[22:25], v26, s[2:3]
	v_readfirstlane_b32 s11, v7
	v_readfirstlane_b32 s10, v6
	s_mov_b64 s[12:13], exec
	s_waitcnt vmcnt(1)
	v_readfirstlane_b32 s14, v27
	v_readfirstlane_b32 s15, v28
	s_and_b64 s[14:15], s[14:15], s[10:11]
	s_mul_i32 s16, s15, 24
	s_mul_hi_u32 s17, s14, 24
	s_mul_i32 s18, s14, 24
	s_add_i32 s16, s17, s16
	v_mov_b32_e32 v6, s16
	s_waitcnt vmcnt(0)
	v_add_co_u32_e32 v27, vcc, s18, v22
	v_addc_co_u32_e32 v28, vcc, v23, v6, vcc
	s_and_saveexec_b64 s[16:17], s[0:1]
	s_cbranch_execz .LBB13_252
; %bb.251:                              ;   in Loop: Header=BB13_188 Depth=1
	v_mov_b32_e32 v6, s12
	v_mov_b32_e32 v7, s13
	global_store_dwordx4 v[27:28], v[6:9], off offset:8
.LBB13_252:                             ;   in Loop: Header=BB13_188 Depth=1
	s_or_b64 exec, exec, s[16:17]
	s_lshl_b64 s[12:13], s[14:15], 12
	v_mov_b32_e32 v6, s13
	v_add_co_u32_e32 v24, vcc, s12, v24
	v_addc_co_u32_e32 v30, vcc, v25, v6, vcc
	v_cmp_lt_u64_e64 vcc, s[6:7], 57
	s_lshl_b32 s12, s8, 2
	v_cndmask_b32_e32 v6, 0, v29, vcc
	s_add_i32 s12, s12, 28
	v_and_b32_e32 v0, 0xffffff1f, v0
	s_and_b32 s12, s12, 0x1e0
	v_or_b32_e32 v0, v0, v6
	v_or_b32_e32 v0, s12, v0
	v_readfirstlane_b32 s12, v24
	v_readfirstlane_b32 s13, v30
	s_nop 4
	global_store_dwordx4 v31, v[0:3], s[12:13]
	global_store_dwordx4 v31, v[10:13], s[12:13] offset:16
	global_store_dwordx4 v31, v[14:17], s[12:13] offset:32
	;; [unrolled: 1-line block ×3, first 2 shown]
	s_and_saveexec_b64 s[12:13], s[0:1]
	s_cbranch_execz .LBB13_260
; %bb.253:                              ;   in Loop: Header=BB13_188 Depth=1
	global_load_dwordx2 v[12:13], v26, s[2:3] offset:32 glc
	global_load_dwordx2 v[0:1], v26, s[2:3] offset:40
	v_mov_b32_e32 v10, s10
	v_mov_b32_e32 v11, s11
	s_waitcnt vmcnt(0)
	v_readfirstlane_b32 s14, v0
	v_readfirstlane_b32 s15, v1
	s_and_b64 s[14:15], s[14:15], s[10:11]
	s_mul_i32 s15, s15, 24
	s_mul_hi_u32 s16, s14, 24
	s_mul_i32 s14, s14, 24
	s_add_i32 s15, s16, s15
	v_mov_b32_e32 v0, s15
	v_add_co_u32_e32 v6, vcc, s14, v22
	v_addc_co_u32_e32 v7, vcc, v23, v0, vcc
	global_store_dwordx2 v[6:7], v[12:13], off
	s_waitcnt vmcnt(0)
	global_atomic_cmpswap_x2 v[2:3], v26, v[10:13], s[2:3] offset:32 glc
	s_waitcnt vmcnt(0)
	v_cmp_ne_u64_e32 vcc, v[2:3], v[12:13]
	s_and_saveexec_b64 s[14:15], vcc
	s_cbranch_execz .LBB13_256
; %bb.254:                              ;   in Loop: Header=BB13_188 Depth=1
	s_mov_b64 s[16:17], 0
.LBB13_255:                             ;   Parent Loop BB13_188 Depth=1
                                        ; =>  This Inner Loop Header: Depth=2
	s_sleep 1
	global_store_dwordx2 v[6:7], v[2:3], off
	v_mov_b32_e32 v0, s10
	v_mov_b32_e32 v1, s11
	s_waitcnt vmcnt(0)
	global_atomic_cmpswap_x2 v[0:1], v26, v[0:3], s[2:3] offset:32 glc
	s_waitcnt vmcnt(0)
	v_cmp_eq_u64_e32 vcc, v[0:1], v[2:3]
	v_mov_b32_e32 v3, v1
	s_or_b64 s[16:17], vcc, s[16:17]
	v_mov_b32_e32 v2, v0
	s_andn2_b64 exec, exec, s[16:17]
	s_cbranch_execnz .LBB13_255
.LBB13_256:                             ;   in Loop: Header=BB13_188 Depth=1
	s_or_b64 exec, exec, s[14:15]
	global_load_dwordx2 v[0:1], v26, s[2:3] offset:16
	s_mov_b64 s[16:17], exec
	v_mbcnt_lo_u32_b32 v2, s16, 0
	v_mbcnt_hi_u32_b32 v2, s17, v2
	v_cmp_eq_u32_e32 vcc, 0, v2
	s_and_saveexec_b64 s[14:15], vcc
	s_cbranch_execz .LBB13_258
; %bb.257:                              ;   in Loop: Header=BB13_188 Depth=1
	s_bcnt1_i32_b64 s16, s[16:17]
	v_mov_b32_e32 v25, s16
	s_waitcnt vmcnt(0)
	global_atomic_add_x2 v[0:1], v[25:26], off offset:8
.LBB13_258:                             ;   in Loop: Header=BB13_188 Depth=1
	s_or_b64 exec, exec, s[14:15]
	s_waitcnt vmcnt(0)
	global_load_dwordx2 v[2:3], v[0:1], off offset:16
	s_waitcnt vmcnt(0)
	v_cmp_eq_u64_e32 vcc, 0, v[2:3]
	s_cbranch_vccnz .LBB13_260
; %bb.259:                              ;   in Loop: Header=BB13_188 Depth=1
	global_load_dword v25, v[0:1], off offset:24
	s_waitcnt vmcnt(0)
	v_readfirstlane_b32 s14, v25
	s_and_b32 m0, s14, 0xffffff
	global_store_dwordx2 v[2:3], v[25:26], off
	s_sendmsg sendmsg(MSG_INTERRUPT)
.LBB13_260:                             ;   in Loop: Header=BB13_188 Depth=1
	s_or_b64 exec, exec, s[12:13]
	v_add_co_u32_e32 v0, vcc, v24, v31
	v_addc_co_u32_e32 v1, vcc, 0, v30, vcc
	s_branch .LBB13_264
.LBB13_261:                             ;   in Loop: Header=BB13_264 Depth=2
	s_or_b64 exec, exec, s[12:13]
	v_readfirstlane_b32 s12, v2
	s_cmp_eq_u32 s12, 0
	s_cbranch_scc1 .LBB13_263
; %bb.262:                              ;   in Loop: Header=BB13_264 Depth=2
	s_sleep 1
	s_cbranch_execnz .LBB13_264
	s_branch .LBB13_266
.LBB13_263:                             ;   in Loop: Header=BB13_188 Depth=1
	s_branch .LBB13_266
.LBB13_264:                             ;   Parent Loop BB13_188 Depth=1
                                        ; =>  This Inner Loop Header: Depth=2
	v_mov_b32_e32 v2, 1
	s_and_saveexec_b64 s[12:13], s[0:1]
	s_cbranch_execz .LBB13_261
; %bb.265:                              ;   in Loop: Header=BB13_264 Depth=2
	global_load_dword v2, v[27:28], off offset:20 glc
	s_waitcnt vmcnt(0)
	buffer_wbinvl1_vol
	v_and_b32_e32 v2, 1, v2
	s_branch .LBB13_261
.LBB13_266:                             ;   in Loop: Header=BB13_188 Depth=1
	global_load_dwordx2 v[0:1], v[0:1], off
	s_and_saveexec_b64 s[12:13], s[0:1]
	s_cbranch_execz .LBB13_187
; %bb.267:                              ;   in Loop: Header=BB13_188 Depth=1
	global_load_dwordx2 v[2:3], v26, s[2:3] offset:40
	global_load_dwordx2 v[14:15], v26, s[2:3] offset:24 glc
	global_load_dwordx2 v[6:7], v26, s[2:3]
	s_waitcnt vmcnt(2)
	v_readfirstlane_b32 s14, v2
	v_readfirstlane_b32 s15, v3
	s_add_u32 s16, s14, 1
	s_addc_u32 s17, s15, 0
	s_add_u32 s0, s16, s10
	s_addc_u32 s1, s17, s11
	s_cmp_eq_u64 s[0:1], 0
	s_cselect_b32 s1, s17, s1
	s_cselect_b32 s0, s16, s0
	s_and_b64 s[10:11], s[0:1], s[14:15]
	s_mul_i32 s11, s11, 24
	s_mul_hi_u32 s14, s10, 24
	s_mul_i32 s10, s10, 24
	s_add_i32 s11, s14, s11
	v_mov_b32_e32 v3, s11
	s_waitcnt vmcnt(0)
	v_add_co_u32_e32 v2, vcc, s10, v6
	v_addc_co_u32_e32 v3, vcc, v7, v3, vcc
	v_mov_b32_e32 v12, s0
	global_store_dwordx2 v[2:3], v[14:15], off
	v_mov_b32_e32 v13, s1
	s_waitcnt vmcnt(0)
	global_atomic_cmpswap_x2 v[12:13], v26, v[12:15], s[2:3] offset:24 glc
	s_waitcnt vmcnt(0)
	v_cmp_ne_u64_e32 vcc, v[12:13], v[14:15]
	s_and_b64 exec, exec, vcc
	s_cbranch_execz .LBB13_187
; %bb.268:                              ;   in Loop: Header=BB13_188 Depth=1
	s_mov_b64 s[10:11], 0
.LBB13_269:                             ;   Parent Loop BB13_188 Depth=1
                                        ; =>  This Inner Loop Header: Depth=2
	s_sleep 1
	global_store_dwordx2 v[2:3], v[12:13], off
	v_mov_b32_e32 v10, s0
	v_mov_b32_e32 v11, s1
	s_waitcnt vmcnt(0)
	global_atomic_cmpswap_x2 v[6:7], v26, v[10:13], s[2:3] offset:24 glc
	s_waitcnt vmcnt(0)
	v_cmp_eq_u64_e32 vcc, v[6:7], v[12:13]
	v_mov_b32_e32 v13, v7
	s_or_b64 s[10:11], vcc, s[10:11]
	v_mov_b32_e32 v12, v6
	s_andn2_b64 exec, exec, s[10:11]
	s_cbranch_execnz .LBB13_269
	s_branch .LBB13_187
.LBB13_270:
	s_mov_b64 s[0:1], -1
                                        ; implicit-def: $vgpr0_vgpr1
	s_branch .LBB13_272
.LBB13_271:
	s_mov_b64 s[0:1], 0
.LBB13_272:
	s_and_b64 vcc, exec, s[0:1]
	s_cbranch_vccz .LBB13_299
; %bb.273:
	v_readfirstlane_b32 s0, v32
	v_mov_b32_e32 v7, 0
	v_mov_b32_e32 v8, 0
	v_cmp_eq_u32_e64 s[0:1], s0, v32
	s_and_saveexec_b64 s[4:5], s[0:1]
	s_cbranch_execz .LBB13_279
; %bb.274:
	s_waitcnt vmcnt(0)
	v_mov_b32_e32 v0, 0
	global_load_dwordx2 v[9:10], v0, s[2:3] offset:24 glc
	s_waitcnt vmcnt(0)
	buffer_wbinvl1_vol
	global_load_dwordx2 v[1:2], v0, s[2:3] offset:40
	global_load_dwordx2 v[6:7], v0, s[2:3]
	s_waitcnt vmcnt(1)
	v_and_b32_e32 v1, v1, v9
	v_and_b32_e32 v2, v2, v10
	v_mul_lo_u32 v2, v2, 24
	v_mul_hi_u32 v3, v1, 24
	v_mul_lo_u32 v1, v1, 24
	v_add_u32_e32 v2, v3, v2
	s_waitcnt vmcnt(0)
	v_add_co_u32_e32 v1, vcc, v6, v1
	v_addc_co_u32_e32 v2, vcc, v7, v2, vcc
	global_load_dwordx2 v[7:8], v[1:2], off glc
	s_waitcnt vmcnt(0)
	global_atomic_cmpswap_x2 v[7:8], v0, v[7:10], s[2:3] offset:24 glc
	s_waitcnt vmcnt(0)
	buffer_wbinvl1_vol
	v_cmp_ne_u64_e32 vcc, v[7:8], v[9:10]
	s_and_saveexec_b64 s[6:7], vcc
	s_cbranch_execz .LBB13_278
; %bb.275:
	s_mov_b64 s[8:9], 0
.LBB13_276:                             ; =>This Inner Loop Header: Depth=1
	s_sleep 1
	global_load_dwordx2 v[1:2], v0, s[2:3] offset:40
	global_load_dwordx2 v[11:12], v0, s[2:3]
	v_mov_b32_e32 v10, v8
	v_mov_b32_e32 v9, v7
	s_waitcnt vmcnt(1)
	v_and_b32_e32 v1, v1, v9
	s_waitcnt vmcnt(0)
	v_mad_u64_u32 v[6:7], s[10:11], v1, 24, v[11:12]
	v_and_b32_e32 v2, v2, v10
	v_mov_b32_e32 v1, v7
	v_mad_u64_u32 v[1:2], s[10:11], v2, 24, v[1:2]
	v_mov_b32_e32 v7, v1
	global_load_dwordx2 v[7:8], v[6:7], off glc
	s_waitcnt vmcnt(0)
	global_atomic_cmpswap_x2 v[7:8], v0, v[7:10], s[2:3] offset:24 glc
	s_waitcnt vmcnt(0)
	buffer_wbinvl1_vol
	v_cmp_eq_u64_e32 vcc, v[7:8], v[9:10]
	s_or_b64 s[8:9], vcc, s[8:9]
	s_andn2_b64 exec, exec, s[8:9]
	s_cbranch_execnz .LBB13_276
; %bb.277:
	s_or_b64 exec, exec, s[8:9]
.LBB13_278:
	s_or_b64 exec, exec, s[6:7]
.LBB13_279:
	s_or_b64 exec, exec, s[4:5]
	v_mov_b32_e32 v6, 0
	global_load_dwordx2 v[9:10], v6, s[2:3] offset:40
	global_load_dwordx4 v[0:3], v6, s[2:3]
	v_readfirstlane_b32 s5, v8
	v_readfirstlane_b32 s4, v7
	s_mov_b64 s[6:7], exec
	s_waitcnt vmcnt(1)
	v_readfirstlane_b32 s8, v9
	v_readfirstlane_b32 s9, v10
	s_and_b64 s[8:9], s[8:9], s[4:5]
	s_mul_i32 s10, s9, 24
	s_mul_hi_u32 s11, s8, 24
	s_mul_i32 s12, s8, 24
	s_add_i32 s10, s11, s10
	v_mov_b32_e32 v7, s10
	s_waitcnt vmcnt(0)
	v_add_co_u32_e32 v8, vcc, s12, v0
	v_addc_co_u32_e32 v9, vcc, v1, v7, vcc
	s_and_saveexec_b64 s[10:11], s[0:1]
	s_cbranch_execz .LBB13_281
; %bb.280:
	v_mov_b32_e32 v11, s7
	v_mov_b32_e32 v10, s6
	;; [unrolled: 1-line block ×4, first 2 shown]
	global_store_dwordx4 v[8:9], v[10:13], off offset:8
.LBB13_281:
	s_or_b64 exec, exec, s[10:11]
	s_lshl_b64 s[6:7], s[8:9], 12
	v_mov_b32_e32 v7, s7
	v_add_co_u32_e32 v2, vcc, s6, v2
	v_addc_co_u32_e32 v3, vcc, v3, v7, vcc
	s_movk_i32 s6, 0xff1f
	v_and_or_b32 v4, v4, s6, 32
	v_add_co_u32_e32 v10, vcc, v2, v31
	s_mov_b32 s8, 0
	v_mov_b32_e32 v7, v6
	v_readfirstlane_b32 s6, v2
	v_readfirstlane_b32 s7, v3
	v_addc_co_u32_e32 v11, vcc, 0, v3, vcc
	s_mov_b32 s9, s8
	s_mov_b32 s10, s8
	;; [unrolled: 1-line block ×3, first 2 shown]
	s_nop 0
	global_store_dwordx4 v31, v[4:7], s[6:7]
	v_mov_b32_e32 v2, s8
	v_mov_b32_e32 v3, s9
	;; [unrolled: 1-line block ×4, first 2 shown]
	global_store_dwordx4 v31, v[2:5], s[6:7] offset:16
	global_store_dwordx4 v31, v[2:5], s[6:7] offset:32
	;; [unrolled: 1-line block ×3, first 2 shown]
	s_and_saveexec_b64 s[6:7], s[0:1]
	s_cbranch_execz .LBB13_289
; %bb.282:
	v_mov_b32_e32 v6, 0
	global_load_dwordx2 v[14:15], v6, s[2:3] offset:32 glc
	global_load_dwordx2 v[2:3], v6, s[2:3] offset:40
	v_mov_b32_e32 v12, s4
	v_mov_b32_e32 v13, s5
	s_waitcnt vmcnt(0)
	v_readfirstlane_b32 s8, v2
	v_readfirstlane_b32 s9, v3
	s_and_b64 s[8:9], s[8:9], s[4:5]
	s_mul_i32 s9, s9, 24
	s_mul_hi_u32 s10, s8, 24
	s_mul_i32 s8, s8, 24
	s_add_i32 s9, s10, s9
	v_mov_b32_e32 v2, s9
	v_add_co_u32_e32 v4, vcc, s8, v0
	v_addc_co_u32_e32 v5, vcc, v1, v2, vcc
	global_store_dwordx2 v[4:5], v[14:15], off
	s_waitcnt vmcnt(0)
	global_atomic_cmpswap_x2 v[2:3], v6, v[12:15], s[2:3] offset:32 glc
	s_waitcnt vmcnt(0)
	v_cmp_ne_u64_e32 vcc, v[2:3], v[14:15]
	s_and_saveexec_b64 s[8:9], vcc
	s_cbranch_execz .LBB13_285
; %bb.283:
	s_mov_b64 s[10:11], 0
.LBB13_284:                             ; =>This Inner Loop Header: Depth=1
	s_sleep 1
	global_store_dwordx2 v[4:5], v[2:3], off
	v_mov_b32_e32 v0, s4
	v_mov_b32_e32 v1, s5
	s_waitcnt vmcnt(0)
	global_atomic_cmpswap_x2 v[0:1], v6, v[0:3], s[2:3] offset:32 glc
	s_waitcnt vmcnt(0)
	v_cmp_eq_u64_e32 vcc, v[0:1], v[2:3]
	v_mov_b32_e32 v3, v1
	s_or_b64 s[10:11], vcc, s[10:11]
	v_mov_b32_e32 v2, v0
	s_andn2_b64 exec, exec, s[10:11]
	s_cbranch_execnz .LBB13_284
.LBB13_285:
	s_or_b64 exec, exec, s[8:9]
	v_mov_b32_e32 v3, 0
	global_load_dwordx2 v[0:1], v3, s[2:3] offset:16
	s_mov_b64 s[8:9], exec
	v_mbcnt_lo_u32_b32 v2, s8, 0
	v_mbcnt_hi_u32_b32 v2, s9, v2
	v_cmp_eq_u32_e32 vcc, 0, v2
	s_and_saveexec_b64 s[10:11], vcc
	s_cbranch_execz .LBB13_287
; %bb.286:
	s_bcnt1_i32_b64 s8, s[8:9]
	v_mov_b32_e32 v2, s8
	s_waitcnt vmcnt(0)
	global_atomic_add_x2 v[0:1], v[2:3], off offset:8
.LBB13_287:
	s_or_b64 exec, exec, s[10:11]
	s_waitcnt vmcnt(0)
	global_load_dwordx2 v[2:3], v[0:1], off offset:16
	s_waitcnt vmcnt(0)
	v_cmp_eq_u64_e32 vcc, 0, v[2:3]
	s_cbranch_vccnz .LBB13_289
; %bb.288:
	global_load_dword v0, v[0:1], off offset:24
	v_mov_b32_e32 v1, 0
	s_waitcnt vmcnt(0)
	v_readfirstlane_b32 s8, v0
	s_and_b32 m0, s8, 0xffffff
	global_store_dwordx2 v[2:3], v[0:1], off
	s_sendmsg sendmsg(MSG_INTERRUPT)
.LBB13_289:
	s_or_b64 exec, exec, s[6:7]
	s_branch .LBB13_293
.LBB13_290:                             ;   in Loop: Header=BB13_293 Depth=1
	s_or_b64 exec, exec, s[6:7]
	v_readfirstlane_b32 s6, v0
	s_cmp_eq_u32 s6, 0
	s_cbranch_scc1 .LBB13_292
; %bb.291:                              ;   in Loop: Header=BB13_293 Depth=1
	s_sleep 1
	s_cbranch_execnz .LBB13_293
	s_branch .LBB13_295
.LBB13_292:
	s_branch .LBB13_295
.LBB13_293:                             ; =>This Inner Loop Header: Depth=1
	v_mov_b32_e32 v0, 1
	s_and_saveexec_b64 s[6:7], s[0:1]
	s_cbranch_execz .LBB13_290
; %bb.294:                              ;   in Loop: Header=BB13_293 Depth=1
	global_load_dword v0, v[8:9], off offset:20 glc
	s_waitcnt vmcnt(0)
	buffer_wbinvl1_vol
	v_and_b32_e32 v0, 1, v0
	s_branch .LBB13_290
.LBB13_295:
	global_load_dwordx2 v[0:1], v[10:11], off
	s_and_saveexec_b64 s[6:7], s[0:1]
	s_cbranch_execz .LBB13_298
; %bb.296:
	v_mov_b32_e32 v8, 0
	global_load_dwordx2 v[2:3], v8, s[2:3] offset:40
	global_load_dwordx2 v[11:12], v8, s[2:3] offset:24 glc
	global_load_dwordx2 v[4:5], v8, s[2:3]
	s_waitcnt vmcnt(2)
	v_readfirstlane_b32 s8, v2
	v_readfirstlane_b32 s9, v3
	s_add_u32 s10, s8, 1
	s_addc_u32 s11, s9, 0
	s_add_u32 s0, s10, s4
	s_addc_u32 s1, s11, s5
	s_cmp_eq_u64 s[0:1], 0
	s_cselect_b32 s1, s11, s1
	s_cselect_b32 s0, s10, s0
	s_and_b64 s[4:5], s[0:1], s[8:9]
	s_mul_i32 s5, s5, 24
	s_mul_hi_u32 s8, s4, 24
	s_mul_i32 s4, s4, 24
	s_add_i32 s5, s8, s5
	v_mov_b32_e32 v2, s5
	s_waitcnt vmcnt(0)
	v_add_co_u32_e32 v6, vcc, s4, v4
	v_addc_co_u32_e32 v7, vcc, v5, v2, vcc
	v_mov_b32_e32 v9, s0
	global_store_dwordx2 v[6:7], v[11:12], off
	v_mov_b32_e32 v10, s1
	s_waitcnt vmcnt(0)
	global_atomic_cmpswap_x2 v[4:5], v8, v[9:12], s[2:3] offset:24 glc
	s_mov_b64 s[4:5], 0
	s_waitcnt vmcnt(0)
	v_cmp_ne_u64_e32 vcc, v[4:5], v[11:12]
	s_and_b64 exec, exec, vcc
	s_cbranch_execz .LBB13_298
.LBB13_297:                             ; =>This Inner Loop Header: Depth=1
	s_sleep 1
	global_store_dwordx2 v[6:7], v[4:5], off
	v_mov_b32_e32 v2, s0
	v_mov_b32_e32 v3, s1
	s_waitcnt vmcnt(0)
	global_atomic_cmpswap_x2 v[2:3], v8, v[2:5], s[2:3] offset:24 glc
	s_waitcnt vmcnt(0)
	v_cmp_eq_u64_e32 vcc, v[2:3], v[4:5]
	v_mov_b32_e32 v5, v3
	s_or_b64 s[4:5], vcc, s[4:5]
	v_mov_b32_e32 v4, v2
	s_andn2_b64 exec, exec, s[4:5]
	s_cbranch_execnz .LBB13_297
.LBB13_298:
	s_or_b64 exec, exec, s[6:7]
.LBB13_299:
	s_getpc_b64 s[4:5]
	s_add_u32 s4, s4, __FUNCTION__._ZN9rocsparseL39csr2csr_compress_fill_warp_start_deviceILj256ELj32ELj2EfEEviPKT2_PjS1_@rel32@lo+4
	s_addc_u32 s5, s5, __FUNCTION__._ZN9rocsparseL39csr2csr_compress_fill_warp_start_deviceILj256ELj32ELj2EfEEviPKT2_PjS1_@rel32@hi+12
	s_cmp_lg_u64 s[4:5], 0
	s_cbranch_scc0 .LBB13_384
; %bb.300:
	s_waitcnt vmcnt(0)
	v_and_b32_e32 v29, 2, v0
	v_mov_b32_e32 v26, 0
	v_and_b32_e32 v2, -3, v0
	v_mov_b32_e32 v3, v1
	s_mov_b64 s[6:7], 40
	v_mov_b32_e32 v8, 2
	v_mov_b32_e32 v9, 1
	s_branch .LBB13_302
.LBB13_301:                             ;   in Loop: Header=BB13_302 Depth=1
	s_or_b64 exec, exec, s[12:13]
	s_sub_u32 s6, s6, s8
	s_subb_u32 s7, s7, s9
	s_add_u32 s4, s4, s8
	s_addc_u32 s5, s5, s9
	s_cmp_lg_u64 s[6:7], 0
	s_cbranch_scc0 .LBB13_385
.LBB13_302:                             ; =>This Loop Header: Depth=1
                                        ;     Child Loop BB13_305 Depth 2
                                        ;     Child Loop BB13_313 Depth 2
	;; [unrolled: 1-line block ×11, first 2 shown]
	v_cmp_lt_u64_e64 s[0:1], s[6:7], 56
	v_cmp_gt_u64_e64 s[10:11], s[6:7], 7
	s_and_b64 s[0:1], s[0:1], exec
	s_cselect_b32 s9, s7, 0
	s_cselect_b32 s8, s6, 56
	s_add_u32 s0, s4, 8
	s_addc_u32 s1, s5, 0
	s_and_b64 vcc, exec, s[10:11]
	s_cbranch_vccnz .LBB13_306
; %bb.303:                              ;   in Loop: Header=BB13_302 Depth=1
	s_cmp_eq_u64 s[6:7], 0
	s_cbranch_scc1 .LBB13_307
; %bb.304:                              ;   in Loop: Header=BB13_302 Depth=1
	v_mov_b32_e32 v4, 0
	s_lshl_b64 s[0:1], s[8:9], 3
	s_mov_b64 s[10:11], 0
	v_mov_b32_e32 v5, 0
	s_mov_b64 s[12:13], s[4:5]
.LBB13_305:                             ;   Parent Loop BB13_302 Depth=1
                                        ; =>  This Inner Loop Header: Depth=2
	global_load_ubyte v6, v26, s[12:13]
	s_waitcnt vmcnt(0)
	v_and_b32_e32 v25, 0xffff, v6
	v_lshlrev_b64 v[6:7], s10, v[25:26]
	s_add_u32 s10, s10, 8
	s_addc_u32 s11, s11, 0
	s_add_u32 s12, s12, 1
	s_addc_u32 s13, s13, 0
	v_or_b32_e32 v4, v6, v4
	s_cmp_lg_u32 s0, s10
	v_or_b32_e32 v5, v7, v5
	s_cbranch_scc1 .LBB13_305
	s_branch .LBB13_308
.LBB13_306:                             ;   in Loop: Header=BB13_302 Depth=1
	s_mov_b32 s14, 0
	s_branch .LBB13_309
.LBB13_307:                             ;   in Loop: Header=BB13_302 Depth=1
	v_mov_b32_e32 v4, 0
	v_mov_b32_e32 v5, 0
.LBB13_308:                             ;   in Loop: Header=BB13_302 Depth=1
	s_mov_b64 s[0:1], s[4:5]
	s_mov_b32 s14, 0
	s_cbranch_execnz .LBB13_310
.LBB13_309:                             ;   in Loop: Header=BB13_302 Depth=1
	global_load_dwordx2 v[4:5], v26, s[4:5]
	s_add_i32 s14, s8, -8
.LBB13_310:                             ;   in Loop: Header=BB13_302 Depth=1
	s_add_u32 s10, s0, 8
	s_addc_u32 s11, s1, 0
	s_cmp_gt_u32 s14, 7
	s_cbranch_scc1 .LBB13_314
; %bb.311:                              ;   in Loop: Header=BB13_302 Depth=1
	s_cmp_eq_u32 s14, 0
	s_cbranch_scc1 .LBB13_315
; %bb.312:                              ;   in Loop: Header=BB13_302 Depth=1
	v_mov_b32_e32 v10, 0
	s_mov_b64 s[10:11], 0
	v_mov_b32_e32 v11, 0
	s_mov_b64 s[12:13], 0
.LBB13_313:                             ;   Parent Loop BB13_302 Depth=1
                                        ; =>  This Inner Loop Header: Depth=2
	s_add_u32 s16, s0, s12
	s_addc_u32 s17, s1, s13
	global_load_ubyte v6, v26, s[16:17]
	s_add_u32 s12, s12, 1
	s_addc_u32 s13, s13, 0
	s_waitcnt vmcnt(0)
	v_and_b32_e32 v25, 0xffff, v6
	v_lshlrev_b64 v[6:7], s10, v[25:26]
	s_add_u32 s10, s10, 8
	s_addc_u32 s11, s11, 0
	v_or_b32_e32 v10, v6, v10
	s_cmp_lg_u32 s14, s12
	v_or_b32_e32 v11, v7, v11
	s_cbranch_scc1 .LBB13_313
	s_branch .LBB13_316
.LBB13_314:                             ;   in Loop: Header=BB13_302 Depth=1
                                        ; implicit-def: $vgpr10_vgpr11
	s_mov_b32 s15, 0
	s_branch .LBB13_317
.LBB13_315:                             ;   in Loop: Header=BB13_302 Depth=1
	v_mov_b32_e32 v10, 0
	v_mov_b32_e32 v11, 0
.LBB13_316:                             ;   in Loop: Header=BB13_302 Depth=1
	s_mov_b64 s[10:11], s[0:1]
	s_mov_b32 s15, 0
	s_cbranch_execnz .LBB13_318
.LBB13_317:                             ;   in Loop: Header=BB13_302 Depth=1
	global_load_dwordx2 v[10:11], v26, s[0:1]
	s_add_i32 s15, s14, -8
.LBB13_318:                             ;   in Loop: Header=BB13_302 Depth=1
	s_add_u32 s0, s10, 8
	s_addc_u32 s1, s11, 0
	s_cmp_gt_u32 s15, 7
	s_cbranch_scc1 .LBB13_322
; %bb.319:                              ;   in Loop: Header=BB13_302 Depth=1
	s_cmp_eq_u32 s15, 0
	s_cbranch_scc1 .LBB13_323
; %bb.320:                              ;   in Loop: Header=BB13_302 Depth=1
	v_mov_b32_e32 v12, 0
	s_mov_b64 s[0:1], 0
	v_mov_b32_e32 v13, 0
	s_mov_b64 s[12:13], 0
.LBB13_321:                             ;   Parent Loop BB13_302 Depth=1
                                        ; =>  This Inner Loop Header: Depth=2
	s_add_u32 s16, s10, s12
	s_addc_u32 s17, s11, s13
	global_load_ubyte v6, v26, s[16:17]
	s_add_u32 s12, s12, 1
	s_addc_u32 s13, s13, 0
	s_waitcnt vmcnt(0)
	v_and_b32_e32 v25, 0xffff, v6
	v_lshlrev_b64 v[6:7], s0, v[25:26]
	s_add_u32 s0, s0, 8
	s_addc_u32 s1, s1, 0
	v_or_b32_e32 v12, v6, v12
	s_cmp_lg_u32 s15, s12
	v_or_b32_e32 v13, v7, v13
	s_cbranch_scc1 .LBB13_321
	s_branch .LBB13_324
.LBB13_322:                             ;   in Loop: Header=BB13_302 Depth=1
	s_mov_b32 s14, 0
	s_branch .LBB13_325
.LBB13_323:                             ;   in Loop: Header=BB13_302 Depth=1
	v_mov_b32_e32 v12, 0
	v_mov_b32_e32 v13, 0
.LBB13_324:                             ;   in Loop: Header=BB13_302 Depth=1
	s_mov_b64 s[0:1], s[10:11]
	s_mov_b32 s14, 0
	s_cbranch_execnz .LBB13_326
.LBB13_325:                             ;   in Loop: Header=BB13_302 Depth=1
	global_load_dwordx2 v[12:13], v26, s[10:11]
	s_add_i32 s14, s15, -8
.LBB13_326:                             ;   in Loop: Header=BB13_302 Depth=1
	s_add_u32 s10, s0, 8
	s_addc_u32 s11, s1, 0
	s_cmp_gt_u32 s14, 7
	s_cbranch_scc1 .LBB13_330
; %bb.327:                              ;   in Loop: Header=BB13_302 Depth=1
	s_cmp_eq_u32 s14, 0
	s_cbranch_scc1 .LBB13_331
; %bb.328:                              ;   in Loop: Header=BB13_302 Depth=1
	v_mov_b32_e32 v14, 0
	s_mov_b64 s[10:11], 0
	v_mov_b32_e32 v15, 0
	s_mov_b64 s[12:13], 0
.LBB13_329:                             ;   Parent Loop BB13_302 Depth=1
                                        ; =>  This Inner Loop Header: Depth=2
	s_add_u32 s16, s0, s12
	s_addc_u32 s17, s1, s13
	global_load_ubyte v6, v26, s[16:17]
	s_add_u32 s12, s12, 1
	s_addc_u32 s13, s13, 0
	s_waitcnt vmcnt(0)
	v_and_b32_e32 v25, 0xffff, v6
	v_lshlrev_b64 v[6:7], s10, v[25:26]
	s_add_u32 s10, s10, 8
	s_addc_u32 s11, s11, 0
	v_or_b32_e32 v14, v6, v14
	s_cmp_lg_u32 s14, s12
	v_or_b32_e32 v15, v7, v15
	s_cbranch_scc1 .LBB13_329
	s_branch .LBB13_332
.LBB13_330:                             ;   in Loop: Header=BB13_302 Depth=1
                                        ; implicit-def: $vgpr14_vgpr15
	s_mov_b32 s15, 0
	s_branch .LBB13_333
.LBB13_331:                             ;   in Loop: Header=BB13_302 Depth=1
	v_mov_b32_e32 v14, 0
	v_mov_b32_e32 v15, 0
.LBB13_332:                             ;   in Loop: Header=BB13_302 Depth=1
	s_mov_b64 s[10:11], s[0:1]
	s_mov_b32 s15, 0
	s_cbranch_execnz .LBB13_334
.LBB13_333:                             ;   in Loop: Header=BB13_302 Depth=1
	global_load_dwordx2 v[14:15], v26, s[0:1]
	s_add_i32 s15, s14, -8
.LBB13_334:                             ;   in Loop: Header=BB13_302 Depth=1
	s_add_u32 s0, s10, 8
	s_addc_u32 s1, s11, 0
	s_cmp_gt_u32 s15, 7
	s_cbranch_scc1 .LBB13_338
; %bb.335:                              ;   in Loop: Header=BB13_302 Depth=1
	s_cmp_eq_u32 s15, 0
	s_cbranch_scc1 .LBB13_339
; %bb.336:                              ;   in Loop: Header=BB13_302 Depth=1
	v_mov_b32_e32 v16, 0
	s_mov_b64 s[0:1], 0
	v_mov_b32_e32 v17, 0
	s_mov_b64 s[12:13], 0
.LBB13_337:                             ;   Parent Loop BB13_302 Depth=1
                                        ; =>  This Inner Loop Header: Depth=2
	s_add_u32 s16, s10, s12
	s_addc_u32 s17, s11, s13
	global_load_ubyte v6, v26, s[16:17]
	s_add_u32 s12, s12, 1
	s_addc_u32 s13, s13, 0
	s_waitcnt vmcnt(0)
	v_and_b32_e32 v25, 0xffff, v6
	v_lshlrev_b64 v[6:7], s0, v[25:26]
	s_add_u32 s0, s0, 8
	s_addc_u32 s1, s1, 0
	v_or_b32_e32 v16, v6, v16
	s_cmp_lg_u32 s15, s12
	v_or_b32_e32 v17, v7, v17
	s_cbranch_scc1 .LBB13_337
	s_branch .LBB13_340
.LBB13_338:                             ;   in Loop: Header=BB13_302 Depth=1
	s_mov_b32 s14, 0
	s_branch .LBB13_341
.LBB13_339:                             ;   in Loop: Header=BB13_302 Depth=1
	v_mov_b32_e32 v16, 0
	v_mov_b32_e32 v17, 0
.LBB13_340:                             ;   in Loop: Header=BB13_302 Depth=1
	s_mov_b64 s[0:1], s[10:11]
	s_mov_b32 s14, 0
	s_cbranch_execnz .LBB13_342
.LBB13_341:                             ;   in Loop: Header=BB13_302 Depth=1
	global_load_dwordx2 v[16:17], v26, s[10:11]
	s_add_i32 s14, s15, -8
.LBB13_342:                             ;   in Loop: Header=BB13_302 Depth=1
	s_add_u32 s10, s0, 8
	s_addc_u32 s11, s1, 0
	s_cmp_gt_u32 s14, 7
	s_cbranch_scc1 .LBB13_346
; %bb.343:                              ;   in Loop: Header=BB13_302 Depth=1
	s_cmp_eq_u32 s14, 0
	s_cbranch_scc1 .LBB13_347
; %bb.344:                              ;   in Loop: Header=BB13_302 Depth=1
	v_mov_b32_e32 v18, 0
	s_mov_b64 s[10:11], 0
	v_mov_b32_e32 v19, 0
	s_mov_b64 s[12:13], 0
.LBB13_345:                             ;   Parent Loop BB13_302 Depth=1
                                        ; =>  This Inner Loop Header: Depth=2
	s_add_u32 s16, s0, s12
	s_addc_u32 s17, s1, s13
	global_load_ubyte v6, v26, s[16:17]
	s_add_u32 s12, s12, 1
	s_addc_u32 s13, s13, 0
	s_waitcnt vmcnt(0)
	v_and_b32_e32 v25, 0xffff, v6
	v_lshlrev_b64 v[6:7], s10, v[25:26]
	s_add_u32 s10, s10, 8
	s_addc_u32 s11, s11, 0
	v_or_b32_e32 v18, v6, v18
	s_cmp_lg_u32 s14, s12
	v_or_b32_e32 v19, v7, v19
	s_cbranch_scc1 .LBB13_345
	s_branch .LBB13_348
.LBB13_346:                             ;   in Loop: Header=BB13_302 Depth=1
                                        ; implicit-def: $vgpr18_vgpr19
	s_mov_b32 s15, 0
	s_branch .LBB13_349
.LBB13_347:                             ;   in Loop: Header=BB13_302 Depth=1
	v_mov_b32_e32 v18, 0
	v_mov_b32_e32 v19, 0
.LBB13_348:                             ;   in Loop: Header=BB13_302 Depth=1
	s_mov_b64 s[10:11], s[0:1]
	s_mov_b32 s15, 0
	s_cbranch_execnz .LBB13_350
.LBB13_349:                             ;   in Loop: Header=BB13_302 Depth=1
	global_load_dwordx2 v[18:19], v26, s[0:1]
	s_add_i32 s15, s14, -8
.LBB13_350:                             ;   in Loop: Header=BB13_302 Depth=1
	s_cmp_gt_u32 s15, 7
	s_cbranch_scc1 .LBB13_354
; %bb.351:                              ;   in Loop: Header=BB13_302 Depth=1
	s_cmp_eq_u32 s15, 0
	s_cbranch_scc1 .LBB13_355
; %bb.352:                              ;   in Loop: Header=BB13_302 Depth=1
	v_mov_b32_e32 v20, 0
	s_mov_b64 s[0:1], 0
	v_mov_b32_e32 v21, 0
	s_mov_b64 s[12:13], s[10:11]
.LBB13_353:                             ;   Parent Loop BB13_302 Depth=1
                                        ; =>  This Inner Loop Header: Depth=2
	global_load_ubyte v6, v26, s[12:13]
	s_add_i32 s15, s15, -1
	s_waitcnt vmcnt(0)
	v_and_b32_e32 v25, 0xffff, v6
	v_lshlrev_b64 v[6:7], s0, v[25:26]
	s_add_u32 s0, s0, 8
	s_addc_u32 s1, s1, 0
	s_add_u32 s12, s12, 1
	s_addc_u32 s13, s13, 0
	v_or_b32_e32 v20, v6, v20
	s_cmp_lg_u32 s15, 0
	v_or_b32_e32 v21, v7, v21
	s_cbranch_scc1 .LBB13_353
	s_branch .LBB13_356
.LBB13_354:                             ;   in Loop: Header=BB13_302 Depth=1
	s_branch .LBB13_357
.LBB13_355:                             ;   in Loop: Header=BB13_302 Depth=1
	v_mov_b32_e32 v20, 0
	v_mov_b32_e32 v21, 0
.LBB13_356:                             ;   in Loop: Header=BB13_302 Depth=1
	s_cbranch_execnz .LBB13_358
.LBB13_357:                             ;   in Loop: Header=BB13_302 Depth=1
	global_load_dwordx2 v[20:21], v26, s[10:11]
.LBB13_358:                             ;   in Loop: Header=BB13_302 Depth=1
	v_readfirstlane_b32 s0, v32
	v_mov_b32_e32 v6, 0
	v_mov_b32_e32 v7, 0
	v_cmp_eq_u32_e64 s[0:1], s0, v32
	s_and_saveexec_b64 s[10:11], s[0:1]
	s_cbranch_execz .LBB13_364
; %bb.359:                              ;   in Loop: Header=BB13_302 Depth=1
	global_load_dwordx2 v[24:25], v26, s[2:3] offset:24 glc
	s_waitcnt vmcnt(0)
	buffer_wbinvl1_vol
	global_load_dwordx2 v[6:7], v26, s[2:3] offset:40
	global_load_dwordx2 v[22:23], v26, s[2:3]
	s_waitcnt vmcnt(1)
	v_and_b32_e32 v6, v6, v24
	v_and_b32_e32 v7, v7, v25
	v_mul_lo_u32 v7, v7, 24
	v_mul_hi_u32 v27, v6, 24
	v_mul_lo_u32 v6, v6, 24
	v_add_u32_e32 v7, v27, v7
	s_waitcnt vmcnt(0)
	v_add_co_u32_e32 v6, vcc, v22, v6
	v_addc_co_u32_e32 v7, vcc, v23, v7, vcc
	global_load_dwordx2 v[22:23], v[6:7], off glc
	s_waitcnt vmcnt(0)
	global_atomic_cmpswap_x2 v[6:7], v26, v[22:25], s[2:3] offset:24 glc
	s_waitcnt vmcnt(0)
	buffer_wbinvl1_vol
	v_cmp_ne_u64_e32 vcc, v[6:7], v[24:25]
	s_and_saveexec_b64 s[12:13], vcc
	s_cbranch_execz .LBB13_363
; %bb.360:                              ;   in Loop: Header=BB13_302 Depth=1
	s_mov_b64 s[14:15], 0
.LBB13_361:                             ;   Parent Loop BB13_302 Depth=1
                                        ; =>  This Inner Loop Header: Depth=2
	s_sleep 1
	global_load_dwordx2 v[22:23], v26, s[2:3] offset:40
	global_load_dwordx2 v[27:28], v26, s[2:3]
	v_mov_b32_e32 v25, v7
	v_mov_b32_e32 v24, v6
	s_waitcnt vmcnt(1)
	v_and_b32_e32 v6, v22, v24
	s_waitcnt vmcnt(0)
	v_mad_u64_u32 v[6:7], s[16:17], v6, 24, v[27:28]
	v_and_b32_e32 v22, v23, v25
	v_mad_u64_u32 v[22:23], s[16:17], v22, 24, v[7:8]
	v_mov_b32_e32 v7, v22
	global_load_dwordx2 v[22:23], v[6:7], off glc
	s_waitcnt vmcnt(0)
	global_atomic_cmpswap_x2 v[6:7], v26, v[22:25], s[2:3] offset:24 glc
	s_waitcnt vmcnt(0)
	buffer_wbinvl1_vol
	v_cmp_eq_u64_e32 vcc, v[6:7], v[24:25]
	s_or_b64 s[14:15], vcc, s[14:15]
	s_andn2_b64 exec, exec, s[14:15]
	s_cbranch_execnz .LBB13_361
; %bb.362:                              ;   in Loop: Header=BB13_302 Depth=1
	s_or_b64 exec, exec, s[14:15]
.LBB13_363:                             ;   in Loop: Header=BB13_302 Depth=1
	s_or_b64 exec, exec, s[12:13]
.LBB13_364:                             ;   in Loop: Header=BB13_302 Depth=1
	s_or_b64 exec, exec, s[10:11]
	global_load_dwordx2 v[27:28], v26, s[2:3] offset:40
	global_load_dwordx4 v[22:25], v26, s[2:3]
	v_readfirstlane_b32 s11, v7
	v_readfirstlane_b32 s10, v6
	s_mov_b64 s[12:13], exec
	s_waitcnt vmcnt(1)
	v_readfirstlane_b32 s14, v27
	v_readfirstlane_b32 s15, v28
	s_and_b64 s[14:15], s[14:15], s[10:11]
	s_mul_i32 s16, s15, 24
	s_mul_hi_u32 s17, s14, 24
	s_mul_i32 s18, s14, 24
	s_add_i32 s16, s17, s16
	v_mov_b32_e32 v6, s16
	s_waitcnt vmcnt(0)
	v_add_co_u32_e32 v27, vcc, s18, v22
	v_addc_co_u32_e32 v28, vcc, v23, v6, vcc
	s_and_saveexec_b64 s[16:17], s[0:1]
	s_cbranch_execz .LBB13_366
; %bb.365:                              ;   in Loop: Header=BB13_302 Depth=1
	v_mov_b32_e32 v6, s12
	v_mov_b32_e32 v7, s13
	global_store_dwordx4 v[27:28], v[6:9], off offset:8
.LBB13_366:                             ;   in Loop: Header=BB13_302 Depth=1
	s_or_b64 exec, exec, s[16:17]
	s_lshl_b64 s[12:13], s[14:15], 12
	v_mov_b32_e32 v6, s13
	v_add_co_u32_e32 v24, vcc, s12, v24
	v_addc_co_u32_e32 v30, vcc, v25, v6, vcc
	v_cmp_lt_u64_e64 vcc, s[6:7], 57
	s_lshl_b32 s12, s8, 2
	v_cndmask_b32_e32 v6, 0, v29, vcc
	s_add_i32 s12, s12, 28
	v_and_b32_e32 v2, 0xffffff1f, v2
	s_and_b32 s12, s12, 0x1e0
	v_or_b32_e32 v2, v2, v6
	v_or_b32_e32 v2, s12, v2
	v_readfirstlane_b32 s12, v24
	v_readfirstlane_b32 s13, v30
	s_nop 4
	global_store_dwordx4 v31, v[2:5], s[12:13]
	global_store_dwordx4 v31, v[10:13], s[12:13] offset:16
	global_store_dwordx4 v31, v[14:17], s[12:13] offset:32
	;; [unrolled: 1-line block ×3, first 2 shown]
	s_and_saveexec_b64 s[12:13], s[0:1]
	s_cbranch_execz .LBB13_374
; %bb.367:                              ;   in Loop: Header=BB13_302 Depth=1
	global_load_dwordx2 v[12:13], v26, s[2:3] offset:32 glc
	global_load_dwordx2 v[2:3], v26, s[2:3] offset:40
	v_mov_b32_e32 v10, s10
	v_mov_b32_e32 v11, s11
	s_waitcnt vmcnt(0)
	v_readfirstlane_b32 s14, v2
	v_readfirstlane_b32 s15, v3
	s_and_b64 s[14:15], s[14:15], s[10:11]
	s_mul_i32 s15, s15, 24
	s_mul_hi_u32 s16, s14, 24
	s_mul_i32 s14, s14, 24
	s_add_i32 s15, s16, s15
	v_mov_b32_e32 v2, s15
	v_add_co_u32_e32 v6, vcc, s14, v22
	v_addc_co_u32_e32 v7, vcc, v23, v2, vcc
	global_store_dwordx2 v[6:7], v[12:13], off
	s_waitcnt vmcnt(0)
	global_atomic_cmpswap_x2 v[4:5], v26, v[10:13], s[2:3] offset:32 glc
	s_waitcnt vmcnt(0)
	v_cmp_ne_u64_e32 vcc, v[4:5], v[12:13]
	s_and_saveexec_b64 s[14:15], vcc
	s_cbranch_execz .LBB13_370
; %bb.368:                              ;   in Loop: Header=BB13_302 Depth=1
	s_mov_b64 s[16:17], 0
.LBB13_369:                             ;   Parent Loop BB13_302 Depth=1
                                        ; =>  This Inner Loop Header: Depth=2
	s_sleep 1
	global_store_dwordx2 v[6:7], v[4:5], off
	v_mov_b32_e32 v2, s10
	v_mov_b32_e32 v3, s11
	s_waitcnt vmcnt(0)
	global_atomic_cmpswap_x2 v[2:3], v26, v[2:5], s[2:3] offset:32 glc
	s_waitcnt vmcnt(0)
	v_cmp_eq_u64_e32 vcc, v[2:3], v[4:5]
	v_mov_b32_e32 v5, v3
	s_or_b64 s[16:17], vcc, s[16:17]
	v_mov_b32_e32 v4, v2
	s_andn2_b64 exec, exec, s[16:17]
	s_cbranch_execnz .LBB13_369
.LBB13_370:                             ;   in Loop: Header=BB13_302 Depth=1
	s_or_b64 exec, exec, s[14:15]
	global_load_dwordx2 v[2:3], v26, s[2:3] offset:16
	s_mov_b64 s[16:17], exec
	v_mbcnt_lo_u32_b32 v4, s16, 0
	v_mbcnt_hi_u32_b32 v4, s17, v4
	v_cmp_eq_u32_e32 vcc, 0, v4
	s_and_saveexec_b64 s[14:15], vcc
	s_cbranch_execz .LBB13_372
; %bb.371:                              ;   in Loop: Header=BB13_302 Depth=1
	s_bcnt1_i32_b64 s16, s[16:17]
	v_mov_b32_e32 v25, s16
	s_waitcnt vmcnt(0)
	global_atomic_add_x2 v[2:3], v[25:26], off offset:8
.LBB13_372:                             ;   in Loop: Header=BB13_302 Depth=1
	s_or_b64 exec, exec, s[14:15]
	s_waitcnt vmcnt(0)
	global_load_dwordx2 v[4:5], v[2:3], off offset:16
	s_waitcnt vmcnt(0)
	v_cmp_eq_u64_e32 vcc, 0, v[4:5]
	s_cbranch_vccnz .LBB13_374
; %bb.373:                              ;   in Loop: Header=BB13_302 Depth=1
	global_load_dword v25, v[2:3], off offset:24
	s_waitcnt vmcnt(0)
	v_readfirstlane_b32 s14, v25
	s_and_b32 m0, s14, 0xffffff
	global_store_dwordx2 v[4:5], v[25:26], off
	s_sendmsg sendmsg(MSG_INTERRUPT)
.LBB13_374:                             ;   in Loop: Header=BB13_302 Depth=1
	s_or_b64 exec, exec, s[12:13]
	v_add_co_u32_e32 v2, vcc, v24, v31
	v_addc_co_u32_e32 v3, vcc, 0, v30, vcc
	s_branch .LBB13_378
.LBB13_375:                             ;   in Loop: Header=BB13_378 Depth=2
	s_or_b64 exec, exec, s[12:13]
	v_readfirstlane_b32 s12, v4
	s_cmp_eq_u32 s12, 0
	s_cbranch_scc1 .LBB13_377
; %bb.376:                              ;   in Loop: Header=BB13_378 Depth=2
	s_sleep 1
	s_cbranch_execnz .LBB13_378
	s_branch .LBB13_380
.LBB13_377:                             ;   in Loop: Header=BB13_302 Depth=1
	s_branch .LBB13_380
.LBB13_378:                             ;   Parent Loop BB13_302 Depth=1
                                        ; =>  This Inner Loop Header: Depth=2
	v_mov_b32_e32 v4, 1
	s_and_saveexec_b64 s[12:13], s[0:1]
	s_cbranch_execz .LBB13_375
; %bb.379:                              ;   in Loop: Header=BB13_378 Depth=2
	global_load_dword v4, v[27:28], off offset:20 glc
	s_waitcnt vmcnt(0)
	buffer_wbinvl1_vol
	v_and_b32_e32 v4, 1, v4
	s_branch .LBB13_375
.LBB13_380:                             ;   in Loop: Header=BB13_302 Depth=1
	global_load_dwordx2 v[2:3], v[2:3], off
	s_and_saveexec_b64 s[12:13], s[0:1]
	s_cbranch_execz .LBB13_301
; %bb.381:                              ;   in Loop: Header=BB13_302 Depth=1
	global_load_dwordx2 v[4:5], v26, s[2:3] offset:40
	global_load_dwordx2 v[14:15], v26, s[2:3] offset:24 glc
	global_load_dwordx2 v[6:7], v26, s[2:3]
	s_waitcnt vmcnt(2)
	v_readfirstlane_b32 s14, v4
	v_readfirstlane_b32 s15, v5
	s_add_u32 s16, s14, 1
	s_addc_u32 s17, s15, 0
	s_add_u32 s0, s16, s10
	s_addc_u32 s1, s17, s11
	s_cmp_eq_u64 s[0:1], 0
	s_cselect_b32 s1, s17, s1
	s_cselect_b32 s0, s16, s0
	s_and_b64 s[10:11], s[0:1], s[14:15]
	s_mul_i32 s11, s11, 24
	s_mul_hi_u32 s14, s10, 24
	s_mul_i32 s10, s10, 24
	s_add_i32 s11, s14, s11
	v_mov_b32_e32 v4, s11
	s_waitcnt vmcnt(0)
	v_add_co_u32_e32 v10, vcc, s10, v6
	v_addc_co_u32_e32 v11, vcc, v7, v4, vcc
	v_mov_b32_e32 v12, s0
	global_store_dwordx2 v[10:11], v[14:15], off
	v_mov_b32_e32 v13, s1
	s_waitcnt vmcnt(0)
	global_atomic_cmpswap_x2 v[6:7], v26, v[12:15], s[2:3] offset:24 glc
	s_waitcnt vmcnt(0)
	v_cmp_ne_u64_e32 vcc, v[6:7], v[14:15]
	s_and_b64 exec, exec, vcc
	s_cbranch_execz .LBB13_301
; %bb.382:                              ;   in Loop: Header=BB13_302 Depth=1
	s_mov_b64 s[10:11], 0
.LBB13_383:                             ;   Parent Loop BB13_302 Depth=1
                                        ; =>  This Inner Loop Header: Depth=2
	s_sleep 1
	global_store_dwordx2 v[10:11], v[6:7], off
	v_mov_b32_e32 v4, s0
	v_mov_b32_e32 v5, s1
	s_waitcnt vmcnt(0)
	global_atomic_cmpswap_x2 v[4:5], v26, v[4:7], s[2:3] offset:24 glc
	s_waitcnt vmcnt(0)
	v_cmp_eq_u64_e32 vcc, v[4:5], v[6:7]
	v_mov_b32_e32 v7, v5
	s_or_b64 s[10:11], vcc, s[10:11]
	v_mov_b32_e32 v6, v4
	s_andn2_b64 exec, exec, s[10:11]
	s_cbranch_execnz .LBB13_383
	s_branch .LBB13_301
.LBB13_384:
	s_mov_b64 s[0:1], -1
                                        ; implicit-def: $vgpr2_vgpr3
	s_branch .LBB13_386
.LBB13_385:
	s_mov_b64 s[0:1], 0
.LBB13_386:
	s_and_b64 vcc, exec, s[0:1]
	s_cbranch_vccz .LBB13_413
; %bb.387:
	v_readfirstlane_b32 s0, v32
	v_mov_b32_e32 v8, 0
	v_mov_b32_e32 v9, 0
	v_cmp_eq_u32_e64 s[0:1], s0, v32
	s_and_saveexec_b64 s[4:5], s[0:1]
	s_cbranch_execz .LBB13_393
; %bb.388:
	s_waitcnt vmcnt(0)
	v_mov_b32_e32 v2, 0
	global_load_dwordx2 v[5:6], v2, s[2:3] offset:24 glc
	s_waitcnt vmcnt(0)
	buffer_wbinvl1_vol
	global_load_dwordx2 v[3:4], v2, s[2:3] offset:40
	global_load_dwordx2 v[7:8], v2, s[2:3]
	s_waitcnt vmcnt(1)
	v_and_b32_e32 v3, v3, v5
	v_and_b32_e32 v4, v4, v6
	v_mul_lo_u32 v4, v4, 24
	v_mul_hi_u32 v9, v3, 24
	v_mul_lo_u32 v3, v3, 24
	v_add_u32_e32 v4, v9, v4
	s_waitcnt vmcnt(0)
	v_add_co_u32_e32 v3, vcc, v7, v3
	v_addc_co_u32_e32 v4, vcc, v8, v4, vcc
	global_load_dwordx2 v[3:4], v[3:4], off glc
	s_waitcnt vmcnt(0)
	global_atomic_cmpswap_x2 v[8:9], v2, v[3:6], s[2:3] offset:24 glc
	s_waitcnt vmcnt(0)
	buffer_wbinvl1_vol
	v_cmp_ne_u64_e32 vcc, v[8:9], v[5:6]
	s_and_saveexec_b64 s[6:7], vcc
	s_cbranch_execz .LBB13_392
; %bb.389:
	s_mov_b64 s[8:9], 0
.LBB13_390:                             ; =>This Inner Loop Header: Depth=1
	s_sleep 1
	global_load_dwordx2 v[3:4], v2, s[2:3] offset:40
	global_load_dwordx2 v[10:11], v2, s[2:3]
	v_mov_b32_e32 v5, v8
	v_mov_b32_e32 v6, v9
	s_waitcnt vmcnt(1)
	v_and_b32_e32 v3, v3, v5
	s_waitcnt vmcnt(0)
	v_mad_u64_u32 v[7:8], s[10:11], v3, 24, v[10:11]
	v_and_b32_e32 v4, v4, v6
	v_mov_b32_e32 v3, v8
	v_mad_u64_u32 v[3:4], s[10:11], v4, 24, v[3:4]
	v_mov_b32_e32 v8, v3
	global_load_dwordx2 v[3:4], v[7:8], off glc
	s_waitcnt vmcnt(0)
	global_atomic_cmpswap_x2 v[8:9], v2, v[3:6], s[2:3] offset:24 glc
	s_waitcnt vmcnt(0)
	buffer_wbinvl1_vol
	v_cmp_eq_u64_e32 vcc, v[8:9], v[5:6]
	s_or_b64 s[8:9], vcc, s[8:9]
	s_andn2_b64 exec, exec, s[8:9]
	s_cbranch_execnz .LBB13_390
; %bb.391:
	s_or_b64 exec, exec, s[8:9]
.LBB13_392:
	s_or_b64 exec, exec, s[6:7]
.LBB13_393:
	s_or_b64 exec, exec, s[4:5]
	s_waitcnt vmcnt(0)
	v_mov_b32_e32 v2, 0
	global_load_dwordx2 v[10:11], v2, s[2:3] offset:40
	global_load_dwordx4 v[4:7], v2, s[2:3]
	v_readfirstlane_b32 s5, v9
	v_readfirstlane_b32 s4, v8
	s_mov_b64 s[6:7], exec
	s_waitcnt vmcnt(1)
	v_readfirstlane_b32 s8, v10
	v_readfirstlane_b32 s9, v11
	s_and_b64 s[8:9], s[8:9], s[4:5]
	s_mul_i32 s10, s9, 24
	s_mul_hi_u32 s11, s8, 24
	s_mul_i32 s12, s8, 24
	s_add_i32 s10, s11, s10
	v_mov_b32_e32 v3, s10
	s_waitcnt vmcnt(0)
	v_add_co_u32_e32 v8, vcc, s12, v4
	v_addc_co_u32_e32 v9, vcc, v5, v3, vcc
	s_and_saveexec_b64 s[10:11], s[0:1]
	s_cbranch_execz .LBB13_395
; %bb.394:
	v_mov_b32_e32 v11, s7
	v_mov_b32_e32 v10, s6
	;; [unrolled: 1-line block ×4, first 2 shown]
	global_store_dwordx4 v[8:9], v[10:13], off offset:8
.LBB13_395:
	s_or_b64 exec, exec, s[10:11]
	s_lshl_b64 s[6:7], s[8:9], 12
	v_mov_b32_e32 v3, s7
	v_add_co_u32_e32 v10, vcc, s6, v6
	v_addc_co_u32_e32 v11, vcc, v7, v3, vcc
	s_movk_i32 s6, 0xff1f
	v_and_or_b32 v0, v0, s6, 32
	s_mov_b32 s8, 0
	v_mov_b32_e32 v3, v2
	v_readfirstlane_b32 s6, v10
	v_readfirstlane_b32 s7, v11
	v_add_co_u32_e32 v6, vcc, v10, v31
	s_mov_b32 s9, s8
	s_mov_b32 s10, s8
	;; [unrolled: 1-line block ×3, first 2 shown]
	s_nop 0
	global_store_dwordx4 v31, v[0:3], s[6:7]
	v_addc_co_u32_e32 v7, vcc, 0, v11, vcc
	v_mov_b32_e32 v0, s8
	v_mov_b32_e32 v1, s9
	;; [unrolled: 1-line block ×4, first 2 shown]
	global_store_dwordx4 v31, v[0:3], s[6:7] offset:16
	global_store_dwordx4 v31, v[0:3], s[6:7] offset:32
	;; [unrolled: 1-line block ×3, first 2 shown]
	s_and_saveexec_b64 s[6:7], s[0:1]
	s_cbranch_execz .LBB13_403
; %bb.396:
	v_mov_b32_e32 v10, 0
	global_load_dwordx2 v[13:14], v10, s[2:3] offset:32 glc
	global_load_dwordx2 v[0:1], v10, s[2:3] offset:40
	v_mov_b32_e32 v11, s4
	v_mov_b32_e32 v12, s5
	s_waitcnt vmcnt(0)
	v_readfirstlane_b32 s8, v0
	v_readfirstlane_b32 s9, v1
	s_and_b64 s[8:9], s[8:9], s[4:5]
	s_mul_i32 s9, s9, 24
	s_mul_hi_u32 s10, s8, 24
	s_mul_i32 s8, s8, 24
	s_add_i32 s9, s10, s9
	v_mov_b32_e32 v0, s9
	v_add_co_u32_e32 v4, vcc, s8, v4
	v_addc_co_u32_e32 v5, vcc, v5, v0, vcc
	global_store_dwordx2 v[4:5], v[13:14], off
	s_waitcnt vmcnt(0)
	global_atomic_cmpswap_x2 v[2:3], v10, v[11:14], s[2:3] offset:32 glc
	s_waitcnt vmcnt(0)
	v_cmp_ne_u64_e32 vcc, v[2:3], v[13:14]
	s_and_saveexec_b64 s[8:9], vcc
	s_cbranch_execz .LBB13_399
; %bb.397:
	s_mov_b64 s[10:11], 0
.LBB13_398:                             ; =>This Inner Loop Header: Depth=1
	s_sleep 1
	global_store_dwordx2 v[4:5], v[2:3], off
	v_mov_b32_e32 v0, s4
	v_mov_b32_e32 v1, s5
	s_waitcnt vmcnt(0)
	global_atomic_cmpswap_x2 v[0:1], v10, v[0:3], s[2:3] offset:32 glc
	s_waitcnt vmcnt(0)
	v_cmp_eq_u64_e32 vcc, v[0:1], v[2:3]
	v_mov_b32_e32 v3, v1
	s_or_b64 s[10:11], vcc, s[10:11]
	v_mov_b32_e32 v2, v0
	s_andn2_b64 exec, exec, s[10:11]
	s_cbranch_execnz .LBB13_398
.LBB13_399:
	s_or_b64 exec, exec, s[8:9]
	v_mov_b32_e32 v3, 0
	global_load_dwordx2 v[0:1], v3, s[2:3] offset:16
	s_mov_b64 s[8:9], exec
	v_mbcnt_lo_u32_b32 v2, s8, 0
	v_mbcnt_hi_u32_b32 v2, s9, v2
	v_cmp_eq_u32_e32 vcc, 0, v2
	s_and_saveexec_b64 s[10:11], vcc
	s_cbranch_execz .LBB13_401
; %bb.400:
	s_bcnt1_i32_b64 s8, s[8:9]
	v_mov_b32_e32 v2, s8
	s_waitcnt vmcnt(0)
	global_atomic_add_x2 v[0:1], v[2:3], off offset:8
.LBB13_401:
	s_or_b64 exec, exec, s[10:11]
	s_waitcnt vmcnt(0)
	global_load_dwordx2 v[2:3], v[0:1], off offset:16
	s_waitcnt vmcnt(0)
	v_cmp_eq_u64_e32 vcc, 0, v[2:3]
	s_cbranch_vccnz .LBB13_403
; %bb.402:
	global_load_dword v0, v[0:1], off offset:24
	v_mov_b32_e32 v1, 0
	s_waitcnt vmcnt(0)
	v_readfirstlane_b32 s8, v0
	s_and_b32 m0, s8, 0xffffff
	global_store_dwordx2 v[2:3], v[0:1], off
	s_sendmsg sendmsg(MSG_INTERRUPT)
.LBB13_403:
	s_or_b64 exec, exec, s[6:7]
	s_branch .LBB13_407
.LBB13_404:                             ;   in Loop: Header=BB13_407 Depth=1
	s_or_b64 exec, exec, s[6:7]
	v_readfirstlane_b32 s6, v0
	s_cmp_eq_u32 s6, 0
	s_cbranch_scc1 .LBB13_406
; %bb.405:                              ;   in Loop: Header=BB13_407 Depth=1
	s_sleep 1
	s_cbranch_execnz .LBB13_407
	s_branch .LBB13_409
.LBB13_406:
	s_branch .LBB13_409
.LBB13_407:                             ; =>This Inner Loop Header: Depth=1
	v_mov_b32_e32 v0, 1
	s_and_saveexec_b64 s[6:7], s[0:1]
	s_cbranch_execz .LBB13_404
; %bb.408:                              ;   in Loop: Header=BB13_407 Depth=1
	global_load_dword v0, v[8:9], off offset:20 glc
	s_waitcnt vmcnt(0)
	buffer_wbinvl1_vol
	v_and_b32_e32 v0, 1, v0
	s_branch .LBB13_404
.LBB13_409:
	global_load_dwordx2 v[2:3], v[6:7], off
	s_and_saveexec_b64 s[6:7], s[0:1]
	s_cbranch_execz .LBB13_412
; %bb.410:
	v_mov_b32_e32 v8, 0
	global_load_dwordx2 v[0:1], v8, s[2:3] offset:40
	global_load_dwordx2 v[11:12], v8, s[2:3] offset:24 glc
	global_load_dwordx2 v[4:5], v8, s[2:3]
	s_waitcnt vmcnt(2)
	v_readfirstlane_b32 s8, v0
	v_readfirstlane_b32 s9, v1
	s_add_u32 s10, s8, 1
	s_addc_u32 s11, s9, 0
	s_add_u32 s0, s10, s4
	s_addc_u32 s1, s11, s5
	s_cmp_eq_u64 s[0:1], 0
	s_cselect_b32 s1, s11, s1
	s_cselect_b32 s0, s10, s0
	s_and_b64 s[4:5], s[0:1], s[8:9]
	s_mul_i32 s5, s5, 24
	s_mul_hi_u32 s8, s4, 24
	s_mul_i32 s4, s4, 24
	s_add_i32 s5, s8, s5
	v_mov_b32_e32 v1, s5
	s_waitcnt vmcnt(0)
	v_add_co_u32_e32 v0, vcc, s4, v4
	v_addc_co_u32_e32 v1, vcc, v5, v1, vcc
	v_mov_b32_e32 v9, s0
	global_store_dwordx2 v[0:1], v[11:12], off
	v_mov_b32_e32 v10, s1
	s_waitcnt vmcnt(0)
	global_atomic_cmpswap_x2 v[6:7], v8, v[9:12], s[2:3] offset:24 glc
	s_mov_b64 s[4:5], 0
	s_waitcnt vmcnt(0)
	v_cmp_ne_u64_e32 vcc, v[6:7], v[11:12]
	s_and_b64 exec, exec, vcc
	s_cbranch_execz .LBB13_412
.LBB13_411:                             ; =>This Inner Loop Header: Depth=1
	s_sleep 1
	global_store_dwordx2 v[0:1], v[6:7], off
	v_mov_b32_e32 v4, s0
	v_mov_b32_e32 v5, s1
	s_waitcnt vmcnt(0)
	global_atomic_cmpswap_x2 v[4:5], v8, v[4:7], s[2:3] offset:24 glc
	s_waitcnt vmcnt(0)
	v_cmp_eq_u64_e32 vcc, v[4:5], v[6:7]
	v_mov_b32_e32 v7, v5
	s_or_b64 s[4:5], vcc, s[4:5]
	v_mov_b32_e32 v6, v4
	s_andn2_b64 exec, exec, s[4:5]
	s_cbranch_execnz .LBB13_411
.LBB13_412:
	s_or_b64 exec, exec, s[6:7]
.LBB13_413:
	v_readfirstlane_b32 s0, v32
	s_waitcnt vmcnt(0)
	v_mov_b32_e32 v0, 0
	v_mov_b32_e32 v1, 0
	v_cmp_eq_u32_e64 s[0:1], s0, v32
	s_and_saveexec_b64 s[4:5], s[0:1]
	s_cbranch_execz .LBB13_419
; %bb.414:
	v_mov_b32_e32 v4, 0
	global_load_dwordx2 v[7:8], v4, s[2:3] offset:24 glc
	s_waitcnt vmcnt(0)
	buffer_wbinvl1_vol
	global_load_dwordx2 v[0:1], v4, s[2:3] offset:40
	global_load_dwordx2 v[5:6], v4, s[2:3]
	s_waitcnt vmcnt(1)
	v_and_b32_e32 v0, v0, v7
	v_and_b32_e32 v1, v1, v8
	v_mul_lo_u32 v1, v1, 24
	v_mul_hi_u32 v9, v0, 24
	v_mul_lo_u32 v0, v0, 24
	v_add_u32_e32 v1, v9, v1
	s_waitcnt vmcnt(0)
	v_add_co_u32_e32 v0, vcc, v5, v0
	v_addc_co_u32_e32 v1, vcc, v6, v1, vcc
	global_load_dwordx2 v[5:6], v[0:1], off glc
	s_waitcnt vmcnt(0)
	global_atomic_cmpswap_x2 v[0:1], v4, v[5:8], s[2:3] offset:24 glc
	s_waitcnt vmcnt(0)
	buffer_wbinvl1_vol
	v_cmp_ne_u64_e32 vcc, v[0:1], v[7:8]
	s_and_saveexec_b64 s[6:7], vcc
	s_cbranch_execz .LBB13_418
; %bb.415:
	s_mov_b64 s[8:9], 0
.LBB13_416:                             ; =>This Inner Loop Header: Depth=1
	s_sleep 1
	global_load_dwordx2 v[5:6], v4, s[2:3] offset:40
	global_load_dwordx2 v[9:10], v4, s[2:3]
	v_mov_b32_e32 v8, v1
	v_mov_b32_e32 v7, v0
	s_waitcnt vmcnt(1)
	v_and_b32_e32 v0, v5, v7
	s_waitcnt vmcnt(0)
	v_mad_u64_u32 v[0:1], s[10:11], v0, 24, v[9:10]
	v_and_b32_e32 v5, v6, v8
	v_mad_u64_u32 v[5:6], s[10:11], v5, 24, v[1:2]
	v_mov_b32_e32 v1, v5
	global_load_dwordx2 v[5:6], v[0:1], off glc
	s_waitcnt vmcnt(0)
	global_atomic_cmpswap_x2 v[0:1], v4, v[5:8], s[2:3] offset:24 glc
	s_waitcnt vmcnt(0)
	buffer_wbinvl1_vol
	v_cmp_eq_u64_e32 vcc, v[0:1], v[7:8]
	s_or_b64 s[8:9], vcc, s[8:9]
	s_andn2_b64 exec, exec, s[8:9]
	s_cbranch_execnz .LBB13_416
; %bb.417:
	s_or_b64 exec, exec, s[8:9]
.LBB13_418:
	s_or_b64 exec, exec, s[6:7]
.LBB13_419:
	s_or_b64 exec, exec, s[4:5]
	v_mov_b32_e32 v5, 0
	global_load_dwordx2 v[10:11], v5, s[2:3] offset:40
	global_load_dwordx4 v[6:9], v5, s[2:3]
	v_readfirstlane_b32 s5, v1
	v_readfirstlane_b32 s4, v0
	s_mov_b64 s[6:7], exec
	s_waitcnt vmcnt(1)
	v_readfirstlane_b32 s8, v10
	v_readfirstlane_b32 s9, v11
	s_and_b64 s[8:9], s[8:9], s[4:5]
	s_mul_i32 s10, s9, 24
	s_mul_hi_u32 s11, s8, 24
	s_mul_i32 s12, s8, 24
	s_add_i32 s10, s11, s10
	v_mov_b32_e32 v0, s10
	s_waitcnt vmcnt(0)
	v_add_co_u32_e32 v10, vcc, s12, v6
	v_addc_co_u32_e32 v11, vcc, v7, v0, vcc
	s_and_saveexec_b64 s[10:11], s[0:1]
	s_cbranch_execz .LBB13_421
; %bb.420:
	v_mov_b32_e32 v13, s7
	v_mov_b32_e32 v12, s6
	;; [unrolled: 1-line block ×4, first 2 shown]
	global_store_dwordx4 v[10:11], v[12:15], off offset:8
.LBB13_421:
	s_or_b64 exec, exec, s[10:11]
	s_lshl_b64 s[6:7], s[8:9], 12
	v_mov_b32_e32 v0, s7
	v_add_co_u32_e32 v1, vcc, s6, v8
	v_addc_co_u32_e32 v0, vcc, v9, v0, vcc
	s_movk_i32 s6, 0xff1d
	v_and_or_b32 v2, v2, s6, 34
	s_mov_b32 s8, 0
	v_mov_b32_e32 v4, 0x48
	v_readfirstlane_b32 s6, v1
	v_readfirstlane_b32 s7, v0
	s_mov_b32 s9, s8
	s_mov_b32 s10, s8
	;; [unrolled: 1-line block ×3, first 2 shown]
	s_nop 1
	global_store_dwordx4 v31, v[2:5], s[6:7]
	v_mov_b32_e32 v0, s8
	v_mov_b32_e32 v1, s9
	;; [unrolled: 1-line block ×4, first 2 shown]
	global_store_dwordx4 v31, v[0:3], s[6:7] offset:16
	global_store_dwordx4 v31, v[0:3], s[6:7] offset:32
	;; [unrolled: 1-line block ×3, first 2 shown]
	s_and_saveexec_b64 s[6:7], s[0:1]
	s_cbranch_execz .LBB13_429
; %bb.422:
	v_mov_b32_e32 v8, 0
	global_load_dwordx2 v[14:15], v8, s[2:3] offset:32 glc
	global_load_dwordx2 v[0:1], v8, s[2:3] offset:40
	v_mov_b32_e32 v12, s4
	v_mov_b32_e32 v13, s5
	s_waitcnt vmcnt(0)
	v_readfirstlane_b32 s8, v0
	v_readfirstlane_b32 s9, v1
	s_and_b64 s[8:9], s[8:9], s[4:5]
	s_mul_i32 s9, s9, 24
	s_mul_hi_u32 s10, s8, 24
	s_mul_i32 s8, s8, 24
	s_add_i32 s9, s10, s9
	v_mov_b32_e32 v0, s9
	v_add_co_u32_e32 v4, vcc, s8, v6
	v_addc_co_u32_e32 v5, vcc, v7, v0, vcc
	global_store_dwordx2 v[4:5], v[14:15], off
	s_waitcnt vmcnt(0)
	global_atomic_cmpswap_x2 v[2:3], v8, v[12:15], s[2:3] offset:32 glc
	s_waitcnt vmcnt(0)
	v_cmp_ne_u64_e32 vcc, v[2:3], v[14:15]
	s_and_saveexec_b64 s[8:9], vcc
	s_cbranch_execz .LBB13_425
; %bb.423:
	s_mov_b64 s[10:11], 0
.LBB13_424:                             ; =>This Inner Loop Header: Depth=1
	s_sleep 1
	global_store_dwordx2 v[4:5], v[2:3], off
	v_mov_b32_e32 v0, s4
	v_mov_b32_e32 v1, s5
	s_waitcnt vmcnt(0)
	global_atomic_cmpswap_x2 v[0:1], v8, v[0:3], s[2:3] offset:32 glc
	s_waitcnt vmcnt(0)
	v_cmp_eq_u64_e32 vcc, v[0:1], v[2:3]
	v_mov_b32_e32 v3, v1
	s_or_b64 s[10:11], vcc, s[10:11]
	v_mov_b32_e32 v2, v0
	s_andn2_b64 exec, exec, s[10:11]
	s_cbranch_execnz .LBB13_424
.LBB13_425:
	s_or_b64 exec, exec, s[8:9]
	v_mov_b32_e32 v3, 0
	global_load_dwordx2 v[0:1], v3, s[2:3] offset:16
	s_mov_b64 s[8:9], exec
	v_mbcnt_lo_u32_b32 v2, s8, 0
	v_mbcnt_hi_u32_b32 v2, s9, v2
	v_cmp_eq_u32_e32 vcc, 0, v2
	s_and_saveexec_b64 s[10:11], vcc
	s_cbranch_execz .LBB13_427
; %bb.426:
	s_bcnt1_i32_b64 s8, s[8:9]
	v_mov_b32_e32 v2, s8
	s_waitcnt vmcnt(0)
	global_atomic_add_x2 v[0:1], v[2:3], off offset:8
.LBB13_427:
	s_or_b64 exec, exec, s[10:11]
	s_waitcnt vmcnt(0)
	global_load_dwordx2 v[2:3], v[0:1], off offset:16
	s_waitcnt vmcnt(0)
	v_cmp_eq_u64_e32 vcc, 0, v[2:3]
	s_cbranch_vccnz .LBB13_429
; %bb.428:
	global_load_dword v0, v[0:1], off offset:24
	v_mov_b32_e32 v1, 0
	s_waitcnt vmcnt(0)
	v_readfirstlane_b32 s8, v0
	s_and_b32 m0, s8, 0xffffff
	global_store_dwordx2 v[2:3], v[0:1], off
	s_sendmsg sendmsg(MSG_INTERRUPT)
.LBB13_429:
	s_or_b64 exec, exec, s[6:7]
	s_branch .LBB13_433
.LBB13_430:                             ;   in Loop: Header=BB13_433 Depth=1
	s_or_b64 exec, exec, s[6:7]
	v_readfirstlane_b32 s6, v0
	s_cmp_eq_u32 s6, 0
	s_cbranch_scc1 .LBB13_432
; %bb.431:                              ;   in Loop: Header=BB13_433 Depth=1
	s_sleep 1
	s_cbranch_execnz .LBB13_433
	s_branch .LBB13_435
.LBB13_432:
	s_branch .LBB13_435
.LBB13_433:                             ; =>This Inner Loop Header: Depth=1
	v_mov_b32_e32 v0, 1
	s_and_saveexec_b64 s[6:7], s[0:1]
	s_cbranch_execz .LBB13_430
; %bb.434:                              ;   in Loop: Header=BB13_433 Depth=1
	global_load_dword v0, v[10:11], off offset:20 glc
	s_waitcnt vmcnt(0)
	buffer_wbinvl1_vol
	v_and_b32_e32 v0, 1, v0
	s_branch .LBB13_430
.LBB13_435:
	s_and_saveexec_b64 s[6:7], s[0:1]
	s_cbranch_execz .LBB13_438
; %bb.436:
	v_mov_b32_e32 v6, 0
	global_load_dwordx2 v[0:1], v6, s[2:3] offset:40
	global_load_dwordx2 v[9:10], v6, s[2:3] offset:24 glc
	global_load_dwordx2 v[2:3], v6, s[2:3]
	s_waitcnt vmcnt(2)
	v_readfirstlane_b32 s8, v0
	v_readfirstlane_b32 s9, v1
	s_add_u32 s10, s8, 1
	s_addc_u32 s11, s9, 0
	s_add_u32 s0, s10, s4
	s_addc_u32 s1, s11, s5
	s_cmp_eq_u64 s[0:1], 0
	s_cselect_b32 s1, s11, s1
	s_cselect_b32 s0, s10, s0
	s_and_b64 s[4:5], s[0:1], s[8:9]
	s_mul_i32 s5, s5, 24
	s_mul_hi_u32 s8, s4, 24
	s_mul_i32 s4, s4, 24
	s_add_i32 s5, s8, s5
	v_mov_b32_e32 v0, s5
	s_waitcnt vmcnt(0)
	v_add_co_u32_e32 v4, vcc, s4, v2
	v_addc_co_u32_e32 v5, vcc, v3, v0, vcc
	v_mov_b32_e32 v7, s0
	global_store_dwordx2 v[4:5], v[9:10], off
	v_mov_b32_e32 v8, s1
	s_waitcnt vmcnt(0)
	global_atomic_cmpswap_x2 v[2:3], v6, v[7:10], s[2:3] offset:24 glc
	s_mov_b64 s[4:5], 0
	s_waitcnt vmcnt(0)
	v_cmp_ne_u64_e32 vcc, v[2:3], v[9:10]
	s_and_b64 exec, exec, vcc
	s_cbranch_execz .LBB13_438
.LBB13_437:                             ; =>This Inner Loop Header: Depth=1
	s_sleep 1
	global_store_dwordx2 v[4:5], v[2:3], off
	v_mov_b32_e32 v0, s0
	v_mov_b32_e32 v1, s1
	s_waitcnt vmcnt(0)
	global_atomic_cmpswap_x2 v[0:1], v6, v[0:3], s[2:3] offset:24 glc
	s_waitcnt vmcnt(0)
	v_cmp_eq_u64_e32 vcc, v[0:1], v[2:3]
	v_mov_b32_e32 v3, v1
	s_or_b64 s[4:5], vcc, s[4:5]
	v_mov_b32_e32 v2, v0
	s_andn2_b64 exec, exec, s[4:5]
	s_cbranch_execnz .LBB13_437
.LBB13_438:
	s_or_b64 exec, exec, s[6:7]
	s_trap 2
	; divergent unreachable
	s_endpgm
	.section	.rodata,"a",@progbits
	.p2align	6, 0x0
	.amdhsa_kernel _ZN9rocsparseL39csr2csr_compress_fill_warp_start_deviceILj256ELj32ELj2E21rocsparse_complex_numIdEEEviPKT2_PjS3_
		.amdhsa_group_segment_fixed_size 0
		.amdhsa_private_segment_fixed_size 0
		.amdhsa_kernarg_size 296
		.amdhsa_user_sgpr_count 6
		.amdhsa_user_sgpr_private_segment_buffer 1
		.amdhsa_user_sgpr_dispatch_ptr 0
		.amdhsa_user_sgpr_queue_ptr 0
		.amdhsa_user_sgpr_kernarg_segment_ptr 1
		.amdhsa_user_sgpr_dispatch_id 0
		.amdhsa_user_sgpr_flat_scratch_init 0
		.amdhsa_user_sgpr_private_segment_size 0
		.amdhsa_uses_dynamic_stack 0
		.amdhsa_system_sgpr_private_segment_wavefront_offset 0
		.amdhsa_system_sgpr_workgroup_id_x 1
		.amdhsa_system_sgpr_workgroup_id_y 0
		.amdhsa_system_sgpr_workgroup_id_z 0
		.amdhsa_system_sgpr_workgroup_info 0
		.amdhsa_system_vgpr_workitem_id 0
		.amdhsa_next_free_vgpr 34
		.amdhsa_next_free_sgpr 22
		.amdhsa_reserve_vcc 1
		.amdhsa_reserve_flat_scratch 0
		.amdhsa_float_round_mode_32 0
		.amdhsa_float_round_mode_16_64 0
		.amdhsa_float_denorm_mode_32 3
		.amdhsa_float_denorm_mode_16_64 3
		.amdhsa_dx10_clamp 1
		.amdhsa_ieee_mode 1
		.amdhsa_fp16_overflow 0
		.amdhsa_exception_fp_ieee_invalid_op 0
		.amdhsa_exception_fp_denorm_src 0
		.amdhsa_exception_fp_ieee_div_zero 0
		.amdhsa_exception_fp_ieee_overflow 0
		.amdhsa_exception_fp_ieee_underflow 0
		.amdhsa_exception_fp_ieee_inexact 0
		.amdhsa_exception_int_div_zero 0
	.end_amdhsa_kernel
	.section	.text._ZN9rocsparseL39csr2csr_compress_fill_warp_start_deviceILj256ELj32ELj2E21rocsparse_complex_numIdEEEviPKT2_PjS3_,"axG",@progbits,_ZN9rocsparseL39csr2csr_compress_fill_warp_start_deviceILj256ELj32ELj2E21rocsparse_complex_numIdEEEviPKT2_PjS3_,comdat
.Lfunc_end13:
	.size	_ZN9rocsparseL39csr2csr_compress_fill_warp_start_deviceILj256ELj32ELj2E21rocsparse_complex_numIdEEEviPKT2_PjS3_, .Lfunc_end13-_ZN9rocsparseL39csr2csr_compress_fill_warp_start_deviceILj256ELj32ELj2E21rocsparse_complex_numIdEEEviPKT2_PjS3_
                                        ; -- End function
	.set _ZN9rocsparseL39csr2csr_compress_fill_warp_start_deviceILj256ELj32ELj2E21rocsparse_complex_numIdEEEviPKT2_PjS3_.num_vgpr, 34
	.set _ZN9rocsparseL39csr2csr_compress_fill_warp_start_deviceILj256ELj32ELj2E21rocsparse_complex_numIdEEEviPKT2_PjS3_.num_agpr, 0
	.set _ZN9rocsparseL39csr2csr_compress_fill_warp_start_deviceILj256ELj32ELj2E21rocsparse_complex_numIdEEEviPKT2_PjS3_.numbered_sgpr, 22
	.set _ZN9rocsparseL39csr2csr_compress_fill_warp_start_deviceILj256ELj32ELj2E21rocsparse_complex_numIdEEEviPKT2_PjS3_.num_named_barrier, 0
	.set _ZN9rocsparseL39csr2csr_compress_fill_warp_start_deviceILj256ELj32ELj2E21rocsparse_complex_numIdEEEviPKT2_PjS3_.private_seg_size, 0
	.set _ZN9rocsparseL39csr2csr_compress_fill_warp_start_deviceILj256ELj32ELj2E21rocsparse_complex_numIdEEEviPKT2_PjS3_.uses_vcc, 1
	.set _ZN9rocsparseL39csr2csr_compress_fill_warp_start_deviceILj256ELj32ELj2E21rocsparse_complex_numIdEEEviPKT2_PjS3_.uses_flat_scratch, 0
	.set _ZN9rocsparseL39csr2csr_compress_fill_warp_start_deviceILj256ELj32ELj2E21rocsparse_complex_numIdEEEviPKT2_PjS3_.has_dyn_sized_stack, 0
	.set _ZN9rocsparseL39csr2csr_compress_fill_warp_start_deviceILj256ELj32ELj2E21rocsparse_complex_numIdEEEviPKT2_PjS3_.has_recursion, 0
	.set _ZN9rocsparseL39csr2csr_compress_fill_warp_start_deviceILj256ELj32ELj2E21rocsparse_complex_numIdEEEviPKT2_PjS3_.has_indirect_call, 0
	.section	.AMDGPU.csdata,"",@progbits
; Kernel info:
; codeLenInByte = 15640
; TotalNumSgprs: 26
; NumVgprs: 34
; ScratchSize: 0
; MemoryBound: 0
; FloatMode: 240
; IeeeMode: 1
; LDSByteSize: 0 bytes/workgroup (compile time only)
; SGPRBlocks: 3
; VGPRBlocks: 8
; NumSGPRsForWavesPerEU: 26
; NumVGPRsForWavesPerEU: 34
; Occupancy: 7
; WaveLimiterHint : 1
; COMPUTE_PGM_RSRC2:SCRATCH_EN: 0
; COMPUTE_PGM_RSRC2:USER_SGPR: 6
; COMPUTE_PGM_RSRC2:TRAP_HANDLER: 0
; COMPUTE_PGM_RSRC2:TGID_X_EN: 1
; COMPUTE_PGM_RSRC2:TGID_Y_EN: 0
; COMPUTE_PGM_RSRC2:TGID_Z_EN: 0
; COMPUTE_PGM_RSRC2:TIDIG_COMP_CNT: 0
	.section	.text._ZN9rocsparseL39csr2csr_compress_fill_warp_start_deviceILj256ELj64ELj2E21rocsparse_complex_numIdEEEviPKT2_PjS3_,"axG",@progbits,_ZN9rocsparseL39csr2csr_compress_fill_warp_start_deviceILj256ELj64ELj2E21rocsparse_complex_numIdEEEviPKT2_PjS3_,comdat
	.globl	_ZN9rocsparseL39csr2csr_compress_fill_warp_start_deviceILj256ELj64ELj2E21rocsparse_complex_numIdEEEviPKT2_PjS3_ ; -- Begin function _ZN9rocsparseL39csr2csr_compress_fill_warp_start_deviceILj256ELj64ELj2E21rocsparse_complex_numIdEEEviPKT2_PjS3_
	.p2align	8
	.type	_ZN9rocsparseL39csr2csr_compress_fill_warp_start_deviceILj256ELj64ELj2E21rocsparse_complex_numIdEEEviPKT2_PjS3_,@function
_ZN9rocsparseL39csr2csr_compress_fill_warp_start_deviceILj256ELj64ELj2E21rocsparse_complex_numIdEEEviPKT2_PjS3_: ; @_ZN9rocsparseL39csr2csr_compress_fill_warp_start_deviceILj256ELj64ELj2E21rocsparse_complex_numIdEEEviPKT2_PjS3_
; %bb.0:
	s_load_dwordx4 s[8:11], s[4:5], 0x8
	v_lshl_or_b32 v6, s6, 9, v0
	v_cmp_eq_u32_e32 vcc, 0, v6
	s_and_saveexec_b64 s[0:1], vcc
	s_cbranch_execz .LBB14_2
; %bb.1:
	v_mov_b32_e32 v1, 0
	s_waitcnt lgkmcnt(0)
	global_store_dword v1, v1, s[10:11]
.LBB14_2:
	s_or_b64 exec, exec, s[0:1]
	s_load_dword s19, s[4:5], 0x0
	s_load_dwordx2 s[2:3], s[4:5], 0x18
	v_lshrrev_b32_e32 v0, 6, v0
	v_lshl_or_b32 v4, s6, 3, v0
	s_mov_b64 s[6:7], 0
	s_waitcnt lgkmcnt(0)
	s_add_i32 s0, s19, -1
	v_cmp_gt_i32_e32 vcc, s19, v6
	s_lshr_b32 s18, s0, 6
	s_mov_b64 s[0:1], -1
	s_and_saveexec_b64 s[12:13], vcc
	s_cbranch_execnz .LBB14_6
; %bb.3:
	s_or_b64 exec, exec, s[12:13]
	s_and_saveexec_b64 s[12:13], s[0:1]
	s_cbranch_execnz .LBB14_23
.LBB14_4:
	s_or_b64 exec, exec, s[12:13]
	s_and_saveexec_b64 s[0:1], s[6:7]
	s_xor_b64 s[0:1], exec, s[0:1]
	s_cbranch_execnz .LBB14_42
.LBB14_5:
	s_endpgm
.LBB14_6:
	v_ashrrev_i32_e32 v7, 31, v6
	v_lshlrev_b64 v[0:1], 4, v[6:7]
	v_mov_b32_e32 v2, s9
	v_add_co_u32_e32 v0, vcc, s8, v0
	v_addc_co_u32_e32 v1, vcc, v2, v1, vcc
	global_load_dwordx4 v[0:3], v[0:1], off glc slc
                                        ; implicit-def: $vgpr9_vgpr10
	s_waitcnt vmcnt(0)
	v_cmp_gt_f64_e32 vcc, 0, v[0:1]
	v_xor_b32_e32 v5, 0x80000000, v1
	v_xor_b32_e32 v7, 0x80000000, v3
	v_cndmask_b32_e32 v1, v1, v5, vcc
	v_cmp_gt_f64_e32 vcc, 0, v[2:3]
	v_cndmask_b32_e32 v8, v3, v7, vcc
	v_mov_b32_e32 v7, v2
	v_cmp_ngt_f64_e64 s[0:1], v[0:1], v[7:8]
	s_and_saveexec_b64 s[6:7], s[0:1]
	s_xor_b64 s[6:7], exec, s[6:7]
	s_cbranch_execz .LBB14_10
; %bb.7:
	v_cmp_neq_f64_e32 vcc, 0, v[2:3]
	v_mov_b32_e32 v9, 0
	v_mov_b32_e32 v10, 0
	s_and_saveexec_b64 s[14:15], vcc
	s_cbranch_execz .LBB14_9
; %bb.8:
	v_div_scale_f64 v[9:10], s[16:17], v[7:8], v[7:8], v[0:1]
	s_mov_b32 s16, 0
	s_brev_b32 s17, 8
	v_mov_b32_e32 v5, 0x100
	v_rcp_f64_e32 v[11:12], v[9:10]
	v_fma_f64 v[13:14], -v[9:10], v[11:12], 1.0
	v_fma_f64 v[11:12], v[11:12], v[13:14], v[11:12]
	v_div_scale_f64 v[13:14], vcc, v[0:1], v[7:8], v[0:1]
	v_fma_f64 v[15:16], -v[9:10], v[11:12], 1.0
	v_fma_f64 v[11:12], v[11:12], v[15:16], v[11:12]
	v_mul_f64 v[15:16], v[13:14], v[11:12]
	v_fma_f64 v[9:10], -v[9:10], v[15:16], v[13:14]
	v_div_fmas_f64 v[9:10], v[9:10], v[11:12], v[15:16]
	v_div_fixup_f64 v[9:10], v[9:10], v[7:8], v[0:1]
	v_fma_f64 v[9:10], v[9:10], v[9:10], 1.0
	v_cmp_gt_f64_e32 vcc, s[16:17], v[9:10]
	v_cndmask_b32_e32 v5, 0, v5, vcc
	v_ldexp_f64 v[9:10], v[9:10], v5
	v_mov_b32_e32 v5, 0xffffff80
	v_cndmask_b32_e32 v5, 0, v5, vcc
	v_rsq_f64_e32 v[11:12], v[9:10]
	v_mul_f64 v[13:14], v[9:10], v[11:12]
	v_mul_f64 v[11:12], v[11:12], 0.5
	v_fma_f64 v[15:16], -v[11:12], v[13:14], 0.5
	v_fma_f64 v[13:14], v[13:14], v[15:16], v[13:14]
	v_fma_f64 v[11:12], v[11:12], v[15:16], v[11:12]
	v_fma_f64 v[15:16], -v[13:14], v[13:14], v[9:10]
	v_fma_f64 v[13:14], v[15:16], v[11:12], v[13:14]
	v_fma_f64 v[15:16], -v[13:14], v[13:14], v[9:10]
	v_fma_f64 v[11:12], v[15:16], v[11:12], v[13:14]
	v_mov_b32_e32 v13, 0x260
	v_cmp_class_f64_e32 vcc, v[9:10], v13
	v_ldexp_f64 v[11:12], v[11:12], v5
	v_cndmask_b32_e32 v10, v12, v10, vcc
	v_cndmask_b32_e32 v9, v11, v9, vcc
	v_mul_f64 v[9:10], v[7:8], v[9:10]
.LBB14_9:
	s_or_b64 exec, exec, s[14:15]
.LBB14_10:
	s_andn2_saveexec_b64 s[6:7], s[6:7]
	s_cbranch_execz .LBB14_12
; %bb.11:
	v_div_scale_f64 v[9:10], s[14:15], v[0:1], v[0:1], v[7:8]
	s_mov_b32 s14, 0
	s_brev_b32 s15, 8
	v_mov_b32_e32 v5, 0x100
	v_rcp_f64_e32 v[11:12], v[9:10]
	v_fma_f64 v[13:14], -v[9:10], v[11:12], 1.0
	v_fma_f64 v[11:12], v[11:12], v[13:14], v[11:12]
	v_div_scale_f64 v[13:14], vcc, v[7:8], v[0:1], v[7:8]
	v_fma_f64 v[15:16], -v[9:10], v[11:12], 1.0
	v_fma_f64 v[11:12], v[11:12], v[15:16], v[11:12]
	v_mul_f64 v[15:16], v[13:14], v[11:12]
	v_fma_f64 v[9:10], -v[9:10], v[15:16], v[13:14]
	v_div_fmas_f64 v[9:10], v[9:10], v[11:12], v[15:16]
	v_div_fixup_f64 v[9:10], v[9:10], v[0:1], v[7:8]
	v_fma_f64 v[9:10], v[9:10], v[9:10], 1.0
	v_cmp_gt_f64_e32 vcc, s[14:15], v[9:10]
	v_cndmask_b32_e32 v5, 0, v5, vcc
	v_ldexp_f64 v[9:10], v[9:10], v5
	v_mov_b32_e32 v5, 0xffffff80
	v_cndmask_b32_e32 v5, 0, v5, vcc
	v_rsq_f64_e32 v[11:12], v[9:10]
	v_mul_f64 v[13:14], v[9:10], v[11:12]
	v_mul_f64 v[11:12], v[11:12], 0.5
	v_fma_f64 v[15:16], -v[11:12], v[13:14], 0.5
	v_fma_f64 v[13:14], v[13:14], v[15:16], v[13:14]
	v_fma_f64 v[11:12], v[11:12], v[15:16], v[11:12]
	v_fma_f64 v[15:16], -v[13:14], v[13:14], v[9:10]
	v_fma_f64 v[13:14], v[15:16], v[11:12], v[13:14]
	v_fma_f64 v[15:16], -v[13:14], v[13:14], v[9:10]
	v_fma_f64 v[11:12], v[15:16], v[11:12], v[13:14]
	v_mov_b32_e32 v13, 0x260
	v_cmp_class_f64_e32 vcc, v[9:10], v13
	v_ldexp_f64 v[11:12], v[11:12], v5
	v_cndmask_b32_e32 v10, v12, v10, vcc
	v_cndmask_b32_e32 v9, v11, v9, vcc
	v_mul_f64 v[9:10], v[0:1], v[9:10]
.LBB14_12:
	s_or_b64 exec, exec, s[6:7]
	v_cmp_lt_f64_e32 vcc, s[2:3], v[9:10]
	s_mov_b64 s[14:15], 0
	s_and_saveexec_b64 s[6:7], vcc
	s_cbranch_execz .LBB14_20
; %bb.13:
                                        ; implicit-def: $vgpr9_vgpr10
	s_and_saveexec_b64 s[14:15], s[0:1]
	s_xor_b64 s[0:1], exec, s[14:15]
	s_cbranch_execz .LBB14_17
; %bb.14:
	v_cmp_neq_f64_e32 vcc, 0, v[2:3]
	v_mov_b32_e32 v9, 0
	v_mov_b32_e32 v10, 0
	s_and_saveexec_b64 s[14:15], vcc
	s_cbranch_execz .LBB14_16
; %bb.15:
	v_div_scale_f64 v[2:3], s[16:17], v[7:8], v[7:8], v[0:1]
	s_mov_b32 s16, 0
	s_brev_b32 s17, 8
	v_mov_b32_e32 v5, 0xffffff80
	v_rcp_f64_e32 v[9:10], v[2:3]
	v_fma_f64 v[11:12], -v[2:3], v[9:10], 1.0
	v_fma_f64 v[9:10], v[9:10], v[11:12], v[9:10]
	v_div_scale_f64 v[11:12], vcc, v[0:1], v[7:8], v[0:1]
	v_fma_f64 v[13:14], -v[2:3], v[9:10], 1.0
	v_fma_f64 v[9:10], v[9:10], v[13:14], v[9:10]
	v_mul_f64 v[13:14], v[11:12], v[9:10]
	v_fma_f64 v[2:3], -v[2:3], v[13:14], v[11:12]
	v_div_fmas_f64 v[2:3], v[2:3], v[9:10], v[13:14]
	v_div_fixup_f64 v[0:1], v[2:3], v[7:8], v[0:1]
	v_mov_b32_e32 v2, 0x100
	v_fma_f64 v[0:1], v[0:1], v[0:1], 1.0
	v_cmp_gt_f64_e32 vcc, s[16:17], v[0:1]
	v_cndmask_b32_e32 v2, 0, v2, vcc
	v_ldexp_f64 v[0:1], v[0:1], v2
	v_cndmask_b32_e32 v5, 0, v5, vcc
	v_rsq_f64_e32 v[2:3], v[0:1]
	v_mul_f64 v[9:10], v[0:1], v[2:3]
	v_mul_f64 v[2:3], v[2:3], 0.5
	v_fma_f64 v[11:12], -v[2:3], v[9:10], 0.5
	v_fma_f64 v[9:10], v[9:10], v[11:12], v[9:10]
	v_fma_f64 v[2:3], v[2:3], v[11:12], v[2:3]
	v_fma_f64 v[11:12], -v[9:10], v[9:10], v[0:1]
	v_fma_f64 v[9:10], v[11:12], v[2:3], v[9:10]
	v_fma_f64 v[11:12], -v[9:10], v[9:10], v[0:1]
	v_fma_f64 v[2:3], v[11:12], v[2:3], v[9:10]
	v_mov_b32_e32 v9, 0x260
	v_cmp_class_f64_e32 vcc, v[0:1], v9
	v_ldexp_f64 v[2:3], v[2:3], v5
	v_cndmask_b32_e32 v1, v3, v1, vcc
	v_cndmask_b32_e32 v0, v2, v0, vcc
	v_mul_f64 v[9:10], v[7:8], v[0:1]
.LBB14_16:
	s_or_b64 exec, exec, s[14:15]
                                        ; implicit-def: $vgpr0_vgpr1
                                        ; implicit-def: $vgpr7_vgpr8
.LBB14_17:
	s_andn2_saveexec_b64 s[0:1], s[0:1]
	s_cbranch_execz .LBB14_19
; %bb.18:
	v_div_scale_f64 v[2:3], s[14:15], v[0:1], v[0:1], v[7:8]
	s_mov_b32 s14, 0
	s_brev_b32 s15, 8
	v_mov_b32_e32 v5, 0x100
	v_rcp_f64_e32 v[9:10], v[2:3]
	v_fma_f64 v[11:12], -v[2:3], v[9:10], 1.0
	v_fma_f64 v[9:10], v[9:10], v[11:12], v[9:10]
	v_div_scale_f64 v[11:12], vcc, v[7:8], v[0:1], v[7:8]
	v_fma_f64 v[13:14], -v[2:3], v[9:10], 1.0
	v_fma_f64 v[9:10], v[9:10], v[13:14], v[9:10]
	v_mul_f64 v[13:14], v[11:12], v[9:10]
	v_fma_f64 v[2:3], -v[2:3], v[13:14], v[11:12]
	v_div_fmas_f64 v[2:3], v[2:3], v[9:10], v[13:14]
	v_div_fixup_f64 v[2:3], v[2:3], v[0:1], v[7:8]
	v_fma_f64 v[2:3], v[2:3], v[2:3], 1.0
	v_cmp_gt_f64_e32 vcc, s[14:15], v[2:3]
	v_cndmask_b32_e32 v5, 0, v5, vcc
	v_ldexp_f64 v[2:3], v[2:3], v5
	v_mov_b32_e32 v5, 0xffffff80
	v_cndmask_b32_e32 v5, 0, v5, vcc
	v_rsq_f64_e32 v[7:8], v[2:3]
	v_mul_f64 v[9:10], v[2:3], v[7:8]
	v_mul_f64 v[7:8], v[7:8], 0.5
	v_fma_f64 v[11:12], -v[7:8], v[9:10], 0.5
	v_fma_f64 v[9:10], v[9:10], v[11:12], v[9:10]
	v_fma_f64 v[7:8], v[7:8], v[11:12], v[7:8]
	v_fma_f64 v[11:12], -v[9:10], v[9:10], v[2:3]
	v_fma_f64 v[9:10], v[11:12], v[7:8], v[9:10]
	v_fma_f64 v[11:12], -v[9:10], v[9:10], v[2:3]
	v_fma_f64 v[7:8], v[11:12], v[7:8], v[9:10]
	v_mov_b32_e32 v9, 0x260
	v_cmp_class_f64_e32 vcc, v[2:3], v9
	v_ldexp_f64 v[7:8], v[7:8], v5
	v_cndmask_b32_e32 v3, v8, v3, vcc
	v_cndmask_b32_e32 v2, v7, v2, vcc
	v_mul_f64 v[9:10], v[0:1], v[2:3]
.LBB14_19:
	s_or_b64 exec, exec, s[0:1]
	s_mov_b32 s0, 0
	s_mov_b32 s1, 0x38100000
	v_cmp_lt_f64_e32 vcc, s[0:1], v[9:10]
	s_and_b64 s[14:15], vcc, exec
.LBB14_20:
	s_or_b64 exec, exec, s[6:7]
	v_cndmask_b32_e64 v0, 0, 1, s[14:15]
	v_cmp_ne_u32_e32 vcc, 0, v0
	v_cmp_ge_u32_e64 s[0:1], s18, v4
	s_mov_b64 s[14:15], 0
	s_mov_b64 s[16:17], -1
	s_and_saveexec_b64 s[6:7], s[0:1]
	s_cbranch_execz .LBB14_22
; %bb.21:
	v_mov_b32_e32 v5, 0
	v_lshlrev_b64 v[0:1], 2, v[4:5]
	s_bcnt1_i32_b64 s0, vcc
	v_mov_b32_e32 v2, s11
	v_add_co_u32_e32 v0, vcc, s10, v0
	s_mov_b64 s[14:15], exec
	v_addc_co_u32_e32 v1, vcc, v2, v1, vcc
	v_mov_b32_e32 v2, s0
	s_xor_b64 s[16:17], exec, -1
	global_store_dword v[0:1], v2, off offset:4
.LBB14_22:
	s_or_b64 exec, exec, s[6:7]
	s_and_b64 s[6:7], s[16:17], exec
	s_orn2_b64 s[0:1], s[14:15], exec
	s_or_b64 exec, exec, s[12:13]
	s_and_saveexec_b64 s[12:13], s[0:1]
	s_cbranch_execz .LBB14_4
.LBB14_23:
	v_add_u32_e32 v0, 0x100, v6
	v_cmp_gt_i32_e32 vcc, s19, v0
	s_mov_b64 s[0:1], s[6:7]
	s_and_saveexec_b64 s[14:15], vcc
	s_cbranch_execz .LBB14_41
; %bb.24:
	v_ashrrev_i32_e32 v1, 31, v0
	v_lshlrev_b64 v[0:1], 4, v[0:1]
	v_mov_b32_e32 v2, s9
	v_add_co_u32_e32 v0, vcc, s8, v0
	v_addc_co_u32_e32 v1, vcc, v2, v1, vcc
	global_load_dwordx4 v[0:3], v[0:1], off glc slc
                                        ; implicit-def: $vgpr7_vgpr8
	s_waitcnt vmcnt(0)
	v_cmp_gt_f64_e32 vcc, 0, v[0:1]
	v_xor_b32_e32 v5, 0x80000000, v1
	v_xor_b32_e32 v6, 0x80000000, v3
	v_cndmask_b32_e32 v1, v1, v5, vcc
	v_cmp_gt_f64_e32 vcc, 0, v[2:3]
	v_mov_b32_e32 v5, v2
	v_cndmask_b32_e32 v6, v3, v6, vcc
	v_cmp_ngt_f64_e64 s[0:1], v[0:1], v[5:6]
	s_and_saveexec_b64 s[8:9], s[0:1]
	s_xor_b64 s[8:9], exec, s[8:9]
	s_cbranch_execz .LBB14_28
; %bb.25:
	v_cmp_neq_f64_e32 vcc, 0, v[2:3]
	v_mov_b32_e32 v7, 0
	v_mov_b32_e32 v8, 0
	s_and_saveexec_b64 s[16:17], vcc
	s_cbranch_execz .LBB14_27
; %bb.26:
	v_div_scale_f64 v[7:8], s[20:21], v[5:6], v[5:6], v[0:1]
	s_mov_b32 s20, 0
	s_brev_b32 s21, 8
	v_rcp_f64_e32 v[9:10], v[7:8]
	v_fma_f64 v[11:12], -v[7:8], v[9:10], 1.0
	v_fma_f64 v[9:10], v[9:10], v[11:12], v[9:10]
	v_div_scale_f64 v[11:12], vcc, v[0:1], v[5:6], v[0:1]
	v_fma_f64 v[13:14], -v[7:8], v[9:10], 1.0
	v_fma_f64 v[9:10], v[9:10], v[13:14], v[9:10]
	v_mul_f64 v[13:14], v[11:12], v[9:10]
	v_fma_f64 v[7:8], -v[7:8], v[13:14], v[11:12]
	v_div_fmas_f64 v[7:8], v[7:8], v[9:10], v[13:14]
	v_mov_b32_e32 v9, 0x100
	v_div_fixup_f64 v[7:8], v[7:8], v[5:6], v[0:1]
	v_fma_f64 v[7:8], v[7:8], v[7:8], 1.0
	v_cmp_gt_f64_e32 vcc, s[20:21], v[7:8]
	v_cndmask_b32_e32 v9, 0, v9, vcc
	v_ldexp_f64 v[7:8], v[7:8], v9
	v_rsq_f64_e32 v[9:10], v[7:8]
	v_mul_f64 v[11:12], v[7:8], v[9:10]
	v_mul_f64 v[9:10], v[9:10], 0.5
	v_fma_f64 v[13:14], -v[9:10], v[11:12], 0.5
	v_fma_f64 v[11:12], v[11:12], v[13:14], v[11:12]
	v_fma_f64 v[9:10], v[9:10], v[13:14], v[9:10]
	v_fma_f64 v[13:14], -v[11:12], v[11:12], v[7:8]
	v_fma_f64 v[11:12], v[13:14], v[9:10], v[11:12]
	v_fma_f64 v[13:14], -v[11:12], v[11:12], v[7:8]
	v_fma_f64 v[9:10], v[13:14], v[9:10], v[11:12]
	v_mov_b32_e32 v11, 0xffffff80
	v_mov_b32_e32 v12, 0x260
	v_cndmask_b32_e32 v11, 0, v11, vcc
	v_cmp_class_f64_e32 vcc, v[7:8], v12
	v_ldexp_f64 v[9:10], v[9:10], v11
	v_cndmask_b32_e32 v8, v10, v8, vcc
	v_cndmask_b32_e32 v7, v9, v7, vcc
	v_mul_f64 v[7:8], v[5:6], v[7:8]
.LBB14_27:
	s_or_b64 exec, exec, s[16:17]
.LBB14_28:
	s_andn2_saveexec_b64 s[8:9], s[8:9]
	s_cbranch_execz .LBB14_30
; %bb.29:
	v_div_scale_f64 v[7:8], s[16:17], v[0:1], v[0:1], v[5:6]
	s_mov_b32 s16, 0
	s_brev_b32 s17, 8
	v_rcp_f64_e32 v[9:10], v[7:8]
	v_fma_f64 v[11:12], -v[7:8], v[9:10], 1.0
	v_fma_f64 v[9:10], v[9:10], v[11:12], v[9:10]
	v_div_scale_f64 v[11:12], vcc, v[5:6], v[0:1], v[5:6]
	v_fma_f64 v[13:14], -v[7:8], v[9:10], 1.0
	v_fma_f64 v[9:10], v[9:10], v[13:14], v[9:10]
	v_mul_f64 v[13:14], v[11:12], v[9:10]
	v_fma_f64 v[7:8], -v[7:8], v[13:14], v[11:12]
	v_div_fmas_f64 v[7:8], v[7:8], v[9:10], v[13:14]
	v_mov_b32_e32 v9, 0x100
	v_div_fixup_f64 v[7:8], v[7:8], v[0:1], v[5:6]
	v_fma_f64 v[7:8], v[7:8], v[7:8], 1.0
	v_cmp_gt_f64_e32 vcc, s[16:17], v[7:8]
	v_cndmask_b32_e32 v9, 0, v9, vcc
	v_ldexp_f64 v[7:8], v[7:8], v9
	v_rsq_f64_e32 v[9:10], v[7:8]
	v_mul_f64 v[11:12], v[7:8], v[9:10]
	v_mul_f64 v[9:10], v[9:10], 0.5
	v_fma_f64 v[13:14], -v[9:10], v[11:12], 0.5
	v_fma_f64 v[11:12], v[11:12], v[13:14], v[11:12]
	v_fma_f64 v[9:10], v[9:10], v[13:14], v[9:10]
	v_fma_f64 v[13:14], -v[11:12], v[11:12], v[7:8]
	v_fma_f64 v[11:12], v[13:14], v[9:10], v[11:12]
	v_fma_f64 v[13:14], -v[11:12], v[11:12], v[7:8]
	v_fma_f64 v[9:10], v[13:14], v[9:10], v[11:12]
	v_mov_b32_e32 v11, 0xffffff80
	v_mov_b32_e32 v12, 0x260
	v_cndmask_b32_e32 v11, 0, v11, vcc
	v_cmp_class_f64_e32 vcc, v[7:8], v12
	v_ldexp_f64 v[9:10], v[9:10], v11
	v_cndmask_b32_e32 v8, v10, v8, vcc
	v_cndmask_b32_e32 v7, v9, v7, vcc
	v_mul_f64 v[7:8], v[0:1], v[7:8]
.LBB14_30:
	s_or_b64 exec, exec, s[8:9]
	v_cmp_lt_f64_e32 vcc, s[2:3], v[7:8]
	s_mov_b64 s[8:9], 0
	s_and_saveexec_b64 s[2:3], vcc
	s_cbranch_execz .LBB14_38
; %bb.31:
                                        ; implicit-def: $vgpr7_vgpr8
	s_and_saveexec_b64 s[8:9], s[0:1]
	s_xor_b64 s[0:1], exec, s[8:9]
	s_cbranch_execz .LBB14_35
; %bb.32:
	v_cmp_neq_f64_e32 vcc, 0, v[2:3]
	v_mov_b32_e32 v7, 0
	v_mov_b32_e32 v8, 0
	s_and_saveexec_b64 s[8:9], vcc
	s_cbranch_execz .LBB14_34
; %bb.33:
	v_div_scale_f64 v[2:3], s[16:17], v[5:6], v[5:6], v[0:1]
	s_mov_b32 s16, 0
	s_brev_b32 s17, 8
	v_rcp_f64_e32 v[7:8], v[2:3]
	v_fma_f64 v[9:10], -v[2:3], v[7:8], 1.0
	v_fma_f64 v[7:8], v[7:8], v[9:10], v[7:8]
	v_div_scale_f64 v[9:10], vcc, v[0:1], v[5:6], v[0:1]
	v_fma_f64 v[11:12], -v[2:3], v[7:8], 1.0
	v_fma_f64 v[7:8], v[7:8], v[11:12], v[7:8]
	v_mul_f64 v[11:12], v[9:10], v[7:8]
	v_fma_f64 v[2:3], -v[2:3], v[11:12], v[9:10]
	v_div_fmas_f64 v[2:3], v[2:3], v[7:8], v[11:12]
	v_div_fixup_f64 v[0:1], v[2:3], v[5:6], v[0:1]
	v_mov_b32_e32 v2, 0x100
	v_fma_f64 v[0:1], v[0:1], v[0:1], 1.0
	v_cmp_gt_f64_e32 vcc, s[16:17], v[0:1]
	v_cndmask_b32_e32 v2, 0, v2, vcc
	v_ldexp_f64 v[0:1], v[0:1], v2
	v_rsq_f64_e32 v[2:3], v[0:1]
	v_mul_f64 v[7:8], v[0:1], v[2:3]
	v_mul_f64 v[2:3], v[2:3], 0.5
	v_fma_f64 v[9:10], -v[2:3], v[7:8], 0.5
	v_fma_f64 v[7:8], v[7:8], v[9:10], v[7:8]
	v_fma_f64 v[2:3], v[2:3], v[9:10], v[2:3]
	v_fma_f64 v[9:10], -v[7:8], v[7:8], v[0:1]
	v_fma_f64 v[7:8], v[9:10], v[2:3], v[7:8]
	v_fma_f64 v[9:10], -v[7:8], v[7:8], v[0:1]
	v_fma_f64 v[2:3], v[9:10], v[2:3], v[7:8]
	v_mov_b32_e32 v7, 0xffffff80
	v_mov_b32_e32 v8, 0x260
	v_cndmask_b32_e32 v7, 0, v7, vcc
	v_cmp_class_f64_e32 vcc, v[0:1], v8
	v_ldexp_f64 v[2:3], v[2:3], v7
	v_cndmask_b32_e32 v1, v3, v1, vcc
	v_cndmask_b32_e32 v0, v2, v0, vcc
	v_mul_f64 v[7:8], v[5:6], v[0:1]
.LBB14_34:
	s_or_b64 exec, exec, s[8:9]
                                        ; implicit-def: $vgpr0_vgpr1
                                        ; implicit-def: $vgpr5_vgpr6
.LBB14_35:
	s_andn2_saveexec_b64 s[0:1], s[0:1]
	s_cbranch_execz .LBB14_37
; %bb.36:
	v_div_scale_f64 v[2:3], s[8:9], v[0:1], v[0:1], v[5:6]
	s_mov_b32 s8, 0
	s_brev_b32 s9, 8
	v_rcp_f64_e32 v[7:8], v[2:3]
	v_fma_f64 v[9:10], -v[2:3], v[7:8], 1.0
	v_fma_f64 v[7:8], v[7:8], v[9:10], v[7:8]
	v_div_scale_f64 v[9:10], vcc, v[5:6], v[0:1], v[5:6]
	v_fma_f64 v[11:12], -v[2:3], v[7:8], 1.0
	v_fma_f64 v[7:8], v[7:8], v[11:12], v[7:8]
	v_mul_f64 v[11:12], v[9:10], v[7:8]
	v_fma_f64 v[2:3], -v[2:3], v[11:12], v[9:10]
	v_div_fmas_f64 v[2:3], v[2:3], v[7:8], v[11:12]
	v_div_fixup_f64 v[2:3], v[2:3], v[0:1], v[5:6]
	v_mov_b32_e32 v5, 0x100
	v_fma_f64 v[2:3], v[2:3], v[2:3], 1.0
	v_cmp_gt_f64_e32 vcc, s[8:9], v[2:3]
	v_cndmask_b32_e32 v5, 0, v5, vcc
	v_ldexp_f64 v[2:3], v[2:3], v5
	v_rsq_f64_e32 v[5:6], v[2:3]
	v_mul_f64 v[7:8], v[2:3], v[5:6]
	v_mul_f64 v[5:6], v[5:6], 0.5
	v_fma_f64 v[9:10], -v[5:6], v[7:8], 0.5
	v_fma_f64 v[7:8], v[7:8], v[9:10], v[7:8]
	v_fma_f64 v[5:6], v[5:6], v[9:10], v[5:6]
	v_fma_f64 v[9:10], -v[7:8], v[7:8], v[2:3]
	v_fma_f64 v[7:8], v[9:10], v[5:6], v[7:8]
	v_fma_f64 v[9:10], -v[7:8], v[7:8], v[2:3]
	v_fma_f64 v[5:6], v[9:10], v[5:6], v[7:8]
	v_mov_b32_e32 v7, 0xffffff80
	v_mov_b32_e32 v8, 0x260
	v_cndmask_b32_e32 v7, 0, v7, vcc
	v_cmp_class_f64_e32 vcc, v[2:3], v8
	v_ldexp_f64 v[5:6], v[5:6], v7
	v_cndmask_b32_e32 v3, v6, v3, vcc
	v_cndmask_b32_e32 v2, v5, v2, vcc
	v_mul_f64 v[7:8], v[0:1], v[2:3]
.LBB14_37:
	s_or_b64 exec, exec, s[0:1]
	s_mov_b32 s0, 0
	s_mov_b32 s1, 0x38100000
	v_cmp_lt_f64_e32 vcc, s[0:1], v[7:8]
	s_and_b64 s[8:9], vcc, exec
.LBB14_38:
	s_or_b64 exec, exec, s[2:3]
	v_cndmask_b32_e64 v0, 0, 1, s[8:9]
	v_cmp_ne_u32_e32 vcc, 0, v0
	v_add_u32_e32 v0, 4, v4
	v_cmp_ge_u32_e64 s[0:1], s18, v0
	s_mov_b64 s[2:3], -1
	s_and_saveexec_b64 s[8:9], s[0:1]
	s_xor_b64 s[0:1], exec, s[8:9]
	s_cbranch_execz .LBB14_40
; %bb.39:
	v_mov_b32_e32 v1, 0
	v_lshlrev_b64 v[0:1], 2, v[0:1]
	s_bcnt1_i32_b64 s2, vcc
	v_mov_b32_e32 v2, s11
	v_add_co_u32_e32 v0, vcc, s10, v0
	v_addc_co_u32_e32 v1, vcc, v2, v1, vcc
	v_mov_b32_e32 v2, s2
	s_xor_b64 s[2:3], exec, -1
	global_store_dword v[0:1], v2, off offset:4
.LBB14_40:
	s_or_b64 exec, exec, s[0:1]
	s_andn2_b64 s[0:1], s[6:7], exec
	s_and_b64 s[2:3], s[2:3], exec
	s_or_b64 s[0:1], s[0:1], s[2:3]
.LBB14_41:
	s_or_b64 exec, exec, s[14:15]
	s_andn2_b64 s[2:3], s[6:7], exec
	s_and_b64 s[0:1], s[0:1], exec
	s_or_b64 s[6:7], s[2:3], s[0:1]
	s_or_b64 exec, exec, s[12:13]
	s_and_saveexec_b64 s[0:1], s[6:7]
	s_xor_b64 s[0:1], exec, s[0:1]
	s_cbranch_execz .LBB14_5
.LBB14_42:
	s_load_dwordx2 s[2:3], s[4:5], 0x78
	v_mbcnt_lo_u32_b32 v0, -1, 0
	v_mbcnt_hi_u32_b32 v32, -1, v0
	v_readfirstlane_b32 s0, v32
	v_mov_b32_e32 v5, 0
	v_mov_b32_e32 v6, 0
	v_cmp_eq_u32_e64 s[0:1], s0, v32
	s_and_saveexec_b64 s[4:5], s[0:1]
	s_cbranch_execz .LBB14_48
; %bb.43:
	v_mov_b32_e32 v0, 0
	s_waitcnt lgkmcnt(0)
	global_load_dwordx2 v[3:4], v0, s[2:3] offset:24 glc
	s_waitcnt vmcnt(0)
	buffer_wbinvl1_vol
	global_load_dwordx2 v[1:2], v0, s[2:3] offset:40
	global_load_dwordx2 v[5:6], v0, s[2:3]
	s_waitcnt vmcnt(1)
	v_and_b32_e32 v1, v1, v3
	v_and_b32_e32 v2, v2, v4
	v_mul_lo_u32 v2, v2, 24
	v_mul_hi_u32 v7, v1, 24
	v_mul_lo_u32 v1, v1, 24
	v_add_u32_e32 v2, v7, v2
	s_waitcnt vmcnt(0)
	v_add_co_u32_e32 v1, vcc, v5, v1
	v_addc_co_u32_e32 v2, vcc, v6, v2, vcc
	global_load_dwordx2 v[1:2], v[1:2], off glc
	s_waitcnt vmcnt(0)
	global_atomic_cmpswap_x2 v[5:6], v0, v[1:4], s[2:3] offset:24 glc
	s_waitcnt vmcnt(0)
	buffer_wbinvl1_vol
	v_cmp_ne_u64_e32 vcc, v[5:6], v[3:4]
	s_and_saveexec_b64 s[6:7], vcc
	s_cbranch_execz .LBB14_47
; %bb.44:
	s_mov_b64 s[8:9], 0
.LBB14_45:                              ; =>This Inner Loop Header: Depth=1
	s_sleep 1
	global_load_dwordx2 v[1:2], v0, s[2:3] offset:40
	global_load_dwordx2 v[7:8], v0, s[2:3]
	v_mov_b32_e32 v3, v5
	v_mov_b32_e32 v4, v6
	s_waitcnt vmcnt(1)
	v_and_b32_e32 v1, v1, v3
	s_waitcnt vmcnt(0)
	v_mad_u64_u32 v[5:6], s[10:11], v1, 24, v[7:8]
	v_and_b32_e32 v2, v2, v4
	v_mov_b32_e32 v1, v6
	v_mad_u64_u32 v[1:2], s[10:11], v2, 24, v[1:2]
	v_mov_b32_e32 v6, v1
	global_load_dwordx2 v[1:2], v[5:6], off glc
	s_waitcnt vmcnt(0)
	global_atomic_cmpswap_x2 v[5:6], v0, v[1:4], s[2:3] offset:24 glc
	s_waitcnt vmcnt(0)
	buffer_wbinvl1_vol
	v_cmp_eq_u64_e32 vcc, v[5:6], v[3:4]
	s_or_b64 s[8:9], vcc, s[8:9]
	s_andn2_b64 exec, exec, s[8:9]
	s_cbranch_execnz .LBB14_45
; %bb.46:
	s_or_b64 exec, exec, s[8:9]
.LBB14_47:
	s_or_b64 exec, exec, s[6:7]
.LBB14_48:
	s_or_b64 exec, exec, s[4:5]
	v_mov_b32_e32 v4, 0
	s_waitcnt lgkmcnt(0)
	global_load_dwordx2 v[7:8], v4, s[2:3] offset:40
	global_load_dwordx4 v[0:3], v4, s[2:3]
	v_readfirstlane_b32 s5, v6
	v_readfirstlane_b32 s4, v5
	s_mov_b64 s[6:7], exec
	s_waitcnt vmcnt(1)
	v_readfirstlane_b32 s8, v7
	v_readfirstlane_b32 s9, v8
	s_and_b64 s[8:9], s[8:9], s[4:5]
	s_mul_i32 s10, s9, 24
	s_mul_hi_u32 s11, s8, 24
	s_mul_i32 s12, s8, 24
	s_add_i32 s10, s11, s10
	v_mov_b32_e32 v5, s10
	s_waitcnt vmcnt(0)
	v_add_co_u32_e32 v7, vcc, s12, v0
	v_addc_co_u32_e32 v8, vcc, v1, v5, vcc
	s_and_saveexec_b64 s[10:11], s[0:1]
	s_cbranch_execz .LBB14_50
; %bb.49:
	v_mov_b32_e32 v10, s7
	v_mov_b32_e32 v9, s6
	;; [unrolled: 1-line block ×4, first 2 shown]
	global_store_dwordx4 v[7:8], v[9:12], off offset:8
.LBB14_50:
	s_or_b64 exec, exec, s[10:11]
	s_lshl_b64 s[6:7], s[8:9], 12
	v_mov_b32_e32 v5, s7
	v_add_co_u32_e32 v2, vcc, s6, v2
	v_addc_co_u32_e32 v11, vcc, v3, v5, vcc
	v_lshlrev_b32_e32 v31, 6, v32
	s_mov_b32 s8, 0
	v_mov_b32_e32 v3, 33
	v_mov_b32_e32 v5, v4
	;; [unrolled: 1-line block ×3, first 2 shown]
	v_readfirstlane_b32 s6, v2
	v_readfirstlane_b32 s7, v11
	v_add_co_u32_e32 v9, vcc, v2, v31
	s_mov_b32 s9, s8
	s_mov_b32 s10, s8
	;; [unrolled: 1-line block ×3, first 2 shown]
	s_nop 0
	global_store_dwordx4 v31, v[3:6], s[6:7]
	v_mov_b32_e32 v2, s8
	v_addc_co_u32_e32 v10, vcc, 0, v11, vcc
	v_mov_b32_e32 v3, s9
	v_mov_b32_e32 v4, s10
	;; [unrolled: 1-line block ×3, first 2 shown]
	global_store_dwordx4 v31, v[2:5], s[6:7] offset:16
	global_store_dwordx4 v31, v[2:5], s[6:7] offset:32
	;; [unrolled: 1-line block ×3, first 2 shown]
	s_and_saveexec_b64 s[6:7], s[0:1]
	s_cbranch_execz .LBB14_58
; %bb.51:
	v_mov_b32_e32 v6, 0
	global_load_dwordx2 v[13:14], v6, s[2:3] offset:32 glc
	global_load_dwordx2 v[2:3], v6, s[2:3] offset:40
	v_mov_b32_e32 v11, s4
	v_mov_b32_e32 v12, s5
	s_waitcnt vmcnt(0)
	v_and_b32_e32 v2, s4, v2
	v_and_b32_e32 v3, s5, v3
	v_mul_lo_u32 v3, v3, 24
	v_mul_hi_u32 v4, v2, 24
	v_mul_lo_u32 v2, v2, 24
	v_add_u32_e32 v3, v4, v3
	v_add_co_u32_e32 v4, vcc, v0, v2
	v_addc_co_u32_e32 v5, vcc, v1, v3, vcc
	global_store_dwordx2 v[4:5], v[13:14], off
	s_waitcnt vmcnt(0)
	global_atomic_cmpswap_x2 v[2:3], v6, v[11:14], s[2:3] offset:32 glc
	s_waitcnt vmcnt(0)
	v_cmp_ne_u64_e32 vcc, v[2:3], v[13:14]
	s_and_saveexec_b64 s[8:9], vcc
	s_cbranch_execz .LBB14_54
; %bb.52:
	s_mov_b64 s[10:11], 0
.LBB14_53:                              ; =>This Inner Loop Header: Depth=1
	s_sleep 1
	global_store_dwordx2 v[4:5], v[2:3], off
	v_mov_b32_e32 v0, s4
	v_mov_b32_e32 v1, s5
	s_waitcnt vmcnt(0)
	global_atomic_cmpswap_x2 v[0:1], v6, v[0:3], s[2:3] offset:32 glc
	s_waitcnt vmcnt(0)
	v_cmp_eq_u64_e32 vcc, v[0:1], v[2:3]
	v_mov_b32_e32 v3, v1
	s_or_b64 s[10:11], vcc, s[10:11]
	v_mov_b32_e32 v2, v0
	s_andn2_b64 exec, exec, s[10:11]
	s_cbranch_execnz .LBB14_53
.LBB14_54:
	s_or_b64 exec, exec, s[8:9]
	v_mov_b32_e32 v3, 0
	global_load_dwordx2 v[0:1], v3, s[2:3] offset:16
	s_mov_b64 s[8:9], exec
	v_mbcnt_lo_u32_b32 v2, s8, 0
	v_mbcnt_hi_u32_b32 v2, s9, v2
	v_cmp_eq_u32_e32 vcc, 0, v2
	s_and_saveexec_b64 s[10:11], vcc
	s_cbranch_execz .LBB14_56
; %bb.55:
	s_bcnt1_i32_b64 s8, s[8:9]
	v_mov_b32_e32 v2, s8
	s_waitcnt vmcnt(0)
	global_atomic_add_x2 v[0:1], v[2:3], off offset:8
.LBB14_56:
	s_or_b64 exec, exec, s[10:11]
	s_waitcnt vmcnt(0)
	global_load_dwordx2 v[2:3], v[0:1], off offset:16
	s_waitcnt vmcnt(0)
	v_cmp_eq_u64_e32 vcc, 0, v[2:3]
	s_cbranch_vccnz .LBB14_58
; %bb.57:
	global_load_dword v0, v[0:1], off offset:24
	v_mov_b32_e32 v1, 0
	s_waitcnt vmcnt(0)
	v_readfirstlane_b32 s8, v0
	s_and_b32 m0, s8, 0xffffff
	global_store_dwordx2 v[2:3], v[0:1], off
	s_sendmsg sendmsg(MSG_INTERRUPT)
.LBB14_58:
	s_or_b64 exec, exec, s[6:7]
	s_branch .LBB14_62
.LBB14_59:                              ;   in Loop: Header=BB14_62 Depth=1
	s_or_b64 exec, exec, s[6:7]
	v_readfirstlane_b32 s6, v0
	s_cmp_eq_u32 s6, 0
	s_cbranch_scc1 .LBB14_61
; %bb.60:                               ;   in Loop: Header=BB14_62 Depth=1
	s_sleep 1
	s_cbranch_execnz .LBB14_62
	s_branch .LBB14_64
.LBB14_61:
	s_branch .LBB14_64
.LBB14_62:                              ; =>This Inner Loop Header: Depth=1
	v_mov_b32_e32 v0, 1
	s_and_saveexec_b64 s[6:7], s[0:1]
	s_cbranch_execz .LBB14_59
; %bb.63:                               ;   in Loop: Header=BB14_62 Depth=1
	global_load_dword v0, v[7:8], off offset:20 glc
	s_waitcnt vmcnt(0)
	buffer_wbinvl1_vol
	v_and_b32_e32 v0, 1, v0
	s_branch .LBB14_59
.LBB14_64:
	global_load_dwordx2 v[0:1], v[9:10], off
	s_and_saveexec_b64 s[6:7], s[0:1]
	s_cbranch_execz .LBB14_67
; %bb.65:
	v_mov_b32_e32 v8, 0
	global_load_dwordx2 v[2:3], v8, s[2:3] offset:40
	global_load_dwordx2 v[11:12], v8, s[2:3] offset:24 glc
	global_load_dwordx2 v[4:5], v8, s[2:3]
	s_waitcnt vmcnt(2)
	v_readfirstlane_b32 s8, v2
	v_readfirstlane_b32 s9, v3
	s_add_u32 s10, s8, 1
	s_addc_u32 s11, s9, 0
	s_add_u32 s0, s10, s4
	s_addc_u32 s1, s11, s5
	s_cmp_eq_u64 s[0:1], 0
	s_cselect_b32 s1, s11, s1
	s_cselect_b32 s0, s10, s0
	s_and_b64 s[4:5], s[0:1], s[8:9]
	s_mul_i32 s5, s5, 24
	s_mul_hi_u32 s8, s4, 24
	s_mul_i32 s4, s4, 24
	s_add_i32 s5, s8, s5
	v_mov_b32_e32 v2, s5
	s_waitcnt vmcnt(0)
	v_add_co_u32_e32 v6, vcc, s4, v4
	v_addc_co_u32_e32 v7, vcc, v5, v2, vcc
	v_mov_b32_e32 v9, s0
	global_store_dwordx2 v[6:7], v[11:12], off
	v_mov_b32_e32 v10, s1
	s_waitcnt vmcnt(0)
	global_atomic_cmpswap_x2 v[4:5], v8, v[9:12], s[2:3] offset:24 glc
	s_mov_b64 s[4:5], 0
	s_waitcnt vmcnt(0)
	v_cmp_ne_u64_e32 vcc, v[4:5], v[11:12]
	s_and_b64 exec, exec, vcc
	s_cbranch_execz .LBB14_67
.LBB14_66:                              ; =>This Inner Loop Header: Depth=1
	s_sleep 1
	global_store_dwordx2 v[6:7], v[4:5], off
	v_mov_b32_e32 v2, s0
	v_mov_b32_e32 v3, s1
	s_waitcnt vmcnt(0)
	global_atomic_cmpswap_x2 v[2:3], v8, v[2:5], s[2:3] offset:24 glc
	s_waitcnt vmcnt(0)
	v_cmp_eq_u64_e32 vcc, v[2:3], v[4:5]
	v_mov_b32_e32 v5, v3
	s_or_b64 s[4:5], vcc, s[4:5]
	v_mov_b32_e32 v4, v2
	s_andn2_b64 exec, exec, s[4:5]
	s_cbranch_execnz .LBB14_66
.LBB14_67:
	s_or_b64 exec, exec, s[6:7]
	s_getpc_b64 s[4:5]
	s_add_u32 s4, s4, .str@rel32@lo+4
	s_addc_u32 s5, s5, .str@rel32@hi+12
	s_cmp_lg_u64 s[4:5], 0
	s_cselect_b64 s[0:1], -1, 0
	s_cmp_eq_u64 s[4:5], 0
	s_mov_b64 s[4:5], 0
	s_cbranch_scc1 .LBB14_71
; %bb.68:
	v_mov_b32_e32 v2, 0
	s_getpc_b64 s[4:5]
	s_add_u32 s4, s4, .str@rel32@lo+3
	s_addc_u32 s5, s5, .str@rel32@hi+11
.LBB14_69:                              ; =>This Inner Loop Header: Depth=1
	global_load_ubyte v3, v2, s[4:5] offset:1
	s_add_u32 s6, s4, 1
	s_addc_u32 s7, s5, 0
	s_mov_b64 s[4:5], s[6:7]
	s_waitcnt vmcnt(0)
	v_cmp_ne_u32_e32 vcc, 0, v3
	s_cbranch_vccnz .LBB14_69
; %bb.70:
	s_getpc_b64 s[4:5]
	s_add_u32 s4, s4, .str@rel32@lo+4
	s_addc_u32 s5, s5, .str@rel32@hi+12
	s_sub_u32 s4, s6, s4
	s_subb_u32 s5, s7, s5
	s_add_u32 s4, s4, 1
	s_addc_u32 s5, s5, 0
.LBB14_71:
	s_and_b64 vcc, exec, s[0:1]
	s_cbranch_vccz .LBB14_156
; %bb.72:
	s_waitcnt vmcnt(0)
	v_and_b32_e32 v33, 2, v0
	v_mov_b32_e32 v28, 0
	v_and_b32_e32 v4, -3, v0
	v_mov_b32_e32 v5, v1
	v_mov_b32_e32 v10, 2
	;; [unrolled: 1-line block ×3, first 2 shown]
	s_getpc_b64 s[6:7]
	s_add_u32 s6, s6, .str@rel32@lo+4
	s_addc_u32 s7, s7, .str@rel32@hi+12
	s_branch .LBB14_74
.LBB14_73:                              ;   in Loop: Header=BB14_74 Depth=1
	s_or_b64 exec, exec, s[12:13]
	s_sub_u32 s4, s4, s8
	s_subb_u32 s5, s5, s9
	s_add_u32 s6, s6, s8
	s_addc_u32 s7, s7, s9
	s_cmp_lg_u64 s[4:5], 0
	s_cbranch_scc0 .LBB14_157
.LBB14_74:                              ; =>This Loop Header: Depth=1
                                        ;     Child Loop BB14_77 Depth 2
                                        ;     Child Loop BB14_85 Depth 2
	;; [unrolled: 1-line block ×11, first 2 shown]
	v_cmp_lt_u64_e64 s[0:1], s[4:5], 56
	v_cmp_gt_u64_e64 s[10:11], s[4:5], 7
	s_and_b64 s[0:1], s[0:1], exec
	s_cselect_b32 s9, s5, 0
	s_cselect_b32 s8, s4, 56
	s_add_u32 s0, s6, 8
	s_addc_u32 s1, s7, 0
	s_and_b64 vcc, exec, s[10:11]
	s_cbranch_vccnz .LBB14_78
; %bb.75:                               ;   in Loop: Header=BB14_74 Depth=1
	s_cmp_eq_u64 s[4:5], 0
	s_cbranch_scc1 .LBB14_79
; %bb.76:                               ;   in Loop: Header=BB14_74 Depth=1
	v_mov_b32_e32 v6, 0
	s_lshl_b64 s[0:1], s[8:9], 3
	s_mov_b64 s[10:11], 0
	v_mov_b32_e32 v7, 0
	s_mov_b64 s[12:13], s[6:7]
.LBB14_77:                              ;   Parent Loop BB14_74 Depth=1
                                        ; =>  This Inner Loop Header: Depth=2
	global_load_ubyte v2, v28, s[12:13]
	s_waitcnt vmcnt(0)
	v_and_b32_e32 v27, 0xffff, v2
	v_lshlrev_b64 v[2:3], s10, v[27:28]
	s_add_u32 s10, s10, 8
	s_addc_u32 s11, s11, 0
	s_add_u32 s12, s12, 1
	s_addc_u32 s13, s13, 0
	v_or_b32_e32 v6, v2, v6
	s_cmp_lg_u32 s0, s10
	v_or_b32_e32 v7, v3, v7
	s_cbranch_scc1 .LBB14_77
	s_branch .LBB14_80
.LBB14_78:                              ;   in Loop: Header=BB14_74 Depth=1
	s_mov_b32 s14, 0
	s_branch .LBB14_81
.LBB14_79:                              ;   in Loop: Header=BB14_74 Depth=1
	v_mov_b32_e32 v6, 0
	v_mov_b32_e32 v7, 0
.LBB14_80:                              ;   in Loop: Header=BB14_74 Depth=1
	s_mov_b64 s[0:1], s[6:7]
	s_mov_b32 s14, 0
	s_cbranch_execnz .LBB14_82
.LBB14_81:                              ;   in Loop: Header=BB14_74 Depth=1
	global_load_dwordx2 v[6:7], v28, s[6:7]
	s_add_i32 s14, s8, -8
.LBB14_82:                              ;   in Loop: Header=BB14_74 Depth=1
	s_add_u32 s10, s0, 8
	s_addc_u32 s11, s1, 0
	s_cmp_gt_u32 s14, 7
	s_cbranch_scc1 .LBB14_86
; %bb.83:                               ;   in Loop: Header=BB14_74 Depth=1
	s_cmp_eq_u32 s14, 0
	s_cbranch_scc1 .LBB14_87
; %bb.84:                               ;   in Loop: Header=BB14_74 Depth=1
	v_mov_b32_e32 v12, 0
	s_mov_b64 s[10:11], 0
	v_mov_b32_e32 v13, 0
	s_mov_b64 s[12:13], 0
.LBB14_85:                              ;   Parent Loop BB14_74 Depth=1
                                        ; =>  This Inner Loop Header: Depth=2
	s_add_u32 s16, s0, s12
	s_addc_u32 s17, s1, s13
	global_load_ubyte v2, v28, s[16:17]
	s_add_u32 s12, s12, 1
	s_addc_u32 s13, s13, 0
	s_waitcnt vmcnt(0)
	v_and_b32_e32 v27, 0xffff, v2
	v_lshlrev_b64 v[2:3], s10, v[27:28]
	s_add_u32 s10, s10, 8
	s_addc_u32 s11, s11, 0
	v_or_b32_e32 v12, v2, v12
	s_cmp_lg_u32 s14, s12
	v_or_b32_e32 v13, v3, v13
	s_cbranch_scc1 .LBB14_85
	s_branch .LBB14_88
.LBB14_86:                              ;   in Loop: Header=BB14_74 Depth=1
                                        ; implicit-def: $vgpr12_vgpr13
	s_mov_b32 s15, 0
	s_branch .LBB14_89
.LBB14_87:                              ;   in Loop: Header=BB14_74 Depth=1
	v_mov_b32_e32 v12, 0
	v_mov_b32_e32 v13, 0
.LBB14_88:                              ;   in Loop: Header=BB14_74 Depth=1
	s_mov_b64 s[10:11], s[0:1]
	s_mov_b32 s15, 0
	s_cbranch_execnz .LBB14_90
.LBB14_89:                              ;   in Loop: Header=BB14_74 Depth=1
	global_load_dwordx2 v[12:13], v28, s[0:1]
	s_add_i32 s15, s14, -8
.LBB14_90:                              ;   in Loop: Header=BB14_74 Depth=1
	s_add_u32 s0, s10, 8
	s_addc_u32 s1, s11, 0
	s_cmp_gt_u32 s15, 7
	s_cbranch_scc1 .LBB14_94
; %bb.91:                               ;   in Loop: Header=BB14_74 Depth=1
	s_cmp_eq_u32 s15, 0
	s_cbranch_scc1 .LBB14_95
; %bb.92:                               ;   in Loop: Header=BB14_74 Depth=1
	v_mov_b32_e32 v14, 0
	s_mov_b64 s[0:1], 0
	v_mov_b32_e32 v15, 0
	s_mov_b64 s[12:13], 0
.LBB14_93:                              ;   Parent Loop BB14_74 Depth=1
                                        ; =>  This Inner Loop Header: Depth=2
	s_add_u32 s16, s10, s12
	s_addc_u32 s17, s11, s13
	global_load_ubyte v2, v28, s[16:17]
	s_add_u32 s12, s12, 1
	s_addc_u32 s13, s13, 0
	s_waitcnt vmcnt(0)
	v_and_b32_e32 v27, 0xffff, v2
	v_lshlrev_b64 v[2:3], s0, v[27:28]
	s_add_u32 s0, s0, 8
	s_addc_u32 s1, s1, 0
	v_or_b32_e32 v14, v2, v14
	s_cmp_lg_u32 s15, s12
	v_or_b32_e32 v15, v3, v15
	s_cbranch_scc1 .LBB14_93
	s_branch .LBB14_96
.LBB14_94:                              ;   in Loop: Header=BB14_74 Depth=1
	s_mov_b32 s14, 0
	s_branch .LBB14_97
.LBB14_95:                              ;   in Loop: Header=BB14_74 Depth=1
	v_mov_b32_e32 v14, 0
	v_mov_b32_e32 v15, 0
.LBB14_96:                              ;   in Loop: Header=BB14_74 Depth=1
	s_mov_b64 s[0:1], s[10:11]
	s_mov_b32 s14, 0
	s_cbranch_execnz .LBB14_98
.LBB14_97:                              ;   in Loop: Header=BB14_74 Depth=1
	global_load_dwordx2 v[14:15], v28, s[10:11]
	s_add_i32 s14, s15, -8
.LBB14_98:                              ;   in Loop: Header=BB14_74 Depth=1
	s_add_u32 s10, s0, 8
	s_addc_u32 s11, s1, 0
	s_cmp_gt_u32 s14, 7
	s_cbranch_scc1 .LBB14_102
; %bb.99:                               ;   in Loop: Header=BB14_74 Depth=1
	s_cmp_eq_u32 s14, 0
	s_cbranch_scc1 .LBB14_103
; %bb.100:                              ;   in Loop: Header=BB14_74 Depth=1
	v_mov_b32_e32 v16, 0
	s_mov_b64 s[10:11], 0
	v_mov_b32_e32 v17, 0
	s_mov_b64 s[12:13], 0
.LBB14_101:                             ;   Parent Loop BB14_74 Depth=1
                                        ; =>  This Inner Loop Header: Depth=2
	s_add_u32 s16, s0, s12
	s_addc_u32 s17, s1, s13
	global_load_ubyte v2, v28, s[16:17]
	s_add_u32 s12, s12, 1
	s_addc_u32 s13, s13, 0
	s_waitcnt vmcnt(0)
	v_and_b32_e32 v27, 0xffff, v2
	v_lshlrev_b64 v[2:3], s10, v[27:28]
	s_add_u32 s10, s10, 8
	s_addc_u32 s11, s11, 0
	v_or_b32_e32 v16, v2, v16
	s_cmp_lg_u32 s14, s12
	v_or_b32_e32 v17, v3, v17
	s_cbranch_scc1 .LBB14_101
	s_branch .LBB14_104
.LBB14_102:                             ;   in Loop: Header=BB14_74 Depth=1
                                        ; implicit-def: $vgpr16_vgpr17
	s_mov_b32 s15, 0
	s_branch .LBB14_105
.LBB14_103:                             ;   in Loop: Header=BB14_74 Depth=1
	v_mov_b32_e32 v16, 0
	v_mov_b32_e32 v17, 0
.LBB14_104:                             ;   in Loop: Header=BB14_74 Depth=1
	s_mov_b64 s[10:11], s[0:1]
	s_mov_b32 s15, 0
	s_cbranch_execnz .LBB14_106
.LBB14_105:                             ;   in Loop: Header=BB14_74 Depth=1
	global_load_dwordx2 v[16:17], v28, s[0:1]
	s_add_i32 s15, s14, -8
.LBB14_106:                             ;   in Loop: Header=BB14_74 Depth=1
	s_add_u32 s0, s10, 8
	s_addc_u32 s1, s11, 0
	s_cmp_gt_u32 s15, 7
	s_cbranch_scc1 .LBB14_110
; %bb.107:                              ;   in Loop: Header=BB14_74 Depth=1
	s_cmp_eq_u32 s15, 0
	s_cbranch_scc1 .LBB14_111
; %bb.108:                              ;   in Loop: Header=BB14_74 Depth=1
	v_mov_b32_e32 v18, 0
	s_mov_b64 s[0:1], 0
	v_mov_b32_e32 v19, 0
	s_mov_b64 s[12:13], 0
.LBB14_109:                             ;   Parent Loop BB14_74 Depth=1
                                        ; =>  This Inner Loop Header: Depth=2
	s_add_u32 s16, s10, s12
	s_addc_u32 s17, s11, s13
	global_load_ubyte v2, v28, s[16:17]
	s_add_u32 s12, s12, 1
	s_addc_u32 s13, s13, 0
	s_waitcnt vmcnt(0)
	v_and_b32_e32 v27, 0xffff, v2
	v_lshlrev_b64 v[2:3], s0, v[27:28]
	s_add_u32 s0, s0, 8
	s_addc_u32 s1, s1, 0
	v_or_b32_e32 v18, v2, v18
	s_cmp_lg_u32 s15, s12
	v_or_b32_e32 v19, v3, v19
	s_cbranch_scc1 .LBB14_109
	s_branch .LBB14_112
.LBB14_110:                             ;   in Loop: Header=BB14_74 Depth=1
	s_mov_b32 s14, 0
	s_branch .LBB14_113
.LBB14_111:                             ;   in Loop: Header=BB14_74 Depth=1
	v_mov_b32_e32 v18, 0
	v_mov_b32_e32 v19, 0
.LBB14_112:                             ;   in Loop: Header=BB14_74 Depth=1
	s_mov_b64 s[0:1], s[10:11]
	s_mov_b32 s14, 0
	s_cbranch_execnz .LBB14_114
.LBB14_113:                             ;   in Loop: Header=BB14_74 Depth=1
	global_load_dwordx2 v[18:19], v28, s[10:11]
	s_add_i32 s14, s15, -8
.LBB14_114:                             ;   in Loop: Header=BB14_74 Depth=1
	s_add_u32 s10, s0, 8
	s_addc_u32 s11, s1, 0
	s_cmp_gt_u32 s14, 7
	s_cbranch_scc1 .LBB14_118
; %bb.115:                              ;   in Loop: Header=BB14_74 Depth=1
	s_cmp_eq_u32 s14, 0
	s_cbranch_scc1 .LBB14_119
; %bb.116:                              ;   in Loop: Header=BB14_74 Depth=1
	v_mov_b32_e32 v20, 0
	s_mov_b64 s[10:11], 0
	v_mov_b32_e32 v21, 0
	s_mov_b64 s[12:13], 0
.LBB14_117:                             ;   Parent Loop BB14_74 Depth=1
                                        ; =>  This Inner Loop Header: Depth=2
	s_add_u32 s16, s0, s12
	s_addc_u32 s17, s1, s13
	global_load_ubyte v2, v28, s[16:17]
	s_add_u32 s12, s12, 1
	s_addc_u32 s13, s13, 0
	s_waitcnt vmcnt(0)
	v_and_b32_e32 v27, 0xffff, v2
	v_lshlrev_b64 v[2:3], s10, v[27:28]
	s_add_u32 s10, s10, 8
	s_addc_u32 s11, s11, 0
	v_or_b32_e32 v20, v2, v20
	s_cmp_lg_u32 s14, s12
	v_or_b32_e32 v21, v3, v21
	s_cbranch_scc1 .LBB14_117
	s_branch .LBB14_120
.LBB14_118:                             ;   in Loop: Header=BB14_74 Depth=1
                                        ; implicit-def: $vgpr20_vgpr21
	s_mov_b32 s15, 0
	s_branch .LBB14_121
.LBB14_119:                             ;   in Loop: Header=BB14_74 Depth=1
	v_mov_b32_e32 v20, 0
	v_mov_b32_e32 v21, 0
.LBB14_120:                             ;   in Loop: Header=BB14_74 Depth=1
	s_mov_b64 s[10:11], s[0:1]
	s_mov_b32 s15, 0
	s_cbranch_execnz .LBB14_122
.LBB14_121:                             ;   in Loop: Header=BB14_74 Depth=1
	global_load_dwordx2 v[20:21], v28, s[0:1]
	s_add_i32 s15, s14, -8
.LBB14_122:                             ;   in Loop: Header=BB14_74 Depth=1
	s_cmp_gt_u32 s15, 7
	s_cbranch_scc1 .LBB14_126
; %bb.123:                              ;   in Loop: Header=BB14_74 Depth=1
	s_cmp_eq_u32 s15, 0
	s_cbranch_scc1 .LBB14_127
; %bb.124:                              ;   in Loop: Header=BB14_74 Depth=1
	v_mov_b32_e32 v22, 0
	s_mov_b64 s[0:1], 0
	v_mov_b32_e32 v23, 0
	s_mov_b64 s[12:13], s[10:11]
.LBB14_125:                             ;   Parent Loop BB14_74 Depth=1
                                        ; =>  This Inner Loop Header: Depth=2
	global_load_ubyte v2, v28, s[12:13]
	s_add_i32 s15, s15, -1
	s_waitcnt vmcnt(0)
	v_and_b32_e32 v27, 0xffff, v2
	v_lshlrev_b64 v[2:3], s0, v[27:28]
	s_add_u32 s0, s0, 8
	s_addc_u32 s1, s1, 0
	s_add_u32 s12, s12, 1
	s_addc_u32 s13, s13, 0
	v_or_b32_e32 v22, v2, v22
	s_cmp_lg_u32 s15, 0
	v_or_b32_e32 v23, v3, v23
	s_cbranch_scc1 .LBB14_125
	s_branch .LBB14_128
.LBB14_126:                             ;   in Loop: Header=BB14_74 Depth=1
	s_branch .LBB14_129
.LBB14_127:                             ;   in Loop: Header=BB14_74 Depth=1
	v_mov_b32_e32 v22, 0
	v_mov_b32_e32 v23, 0
.LBB14_128:                             ;   in Loop: Header=BB14_74 Depth=1
	s_cbranch_execnz .LBB14_130
.LBB14_129:                             ;   in Loop: Header=BB14_74 Depth=1
	global_load_dwordx2 v[22:23], v28, s[10:11]
.LBB14_130:                             ;   in Loop: Header=BB14_74 Depth=1
	v_readfirstlane_b32 s0, v32
	v_mov_b32_e32 v2, 0
	v_mov_b32_e32 v3, 0
	v_cmp_eq_u32_e64 s[0:1], s0, v32
	s_and_saveexec_b64 s[10:11], s[0:1]
	s_cbranch_execz .LBB14_136
; %bb.131:                              ;   in Loop: Header=BB14_74 Depth=1
	global_load_dwordx2 v[26:27], v28, s[2:3] offset:24 glc
	s_waitcnt vmcnt(0)
	buffer_wbinvl1_vol
	global_load_dwordx2 v[2:3], v28, s[2:3] offset:40
	global_load_dwordx2 v[8:9], v28, s[2:3]
	s_waitcnt vmcnt(1)
	v_and_b32_e32 v2, v2, v26
	v_and_b32_e32 v3, v3, v27
	v_mul_lo_u32 v3, v3, 24
	v_mul_hi_u32 v24, v2, 24
	v_mul_lo_u32 v2, v2, 24
	v_add_u32_e32 v3, v24, v3
	s_waitcnt vmcnt(0)
	v_add_co_u32_e32 v2, vcc, v8, v2
	v_addc_co_u32_e32 v3, vcc, v9, v3, vcc
	global_load_dwordx2 v[24:25], v[2:3], off glc
	s_waitcnt vmcnt(0)
	global_atomic_cmpswap_x2 v[2:3], v28, v[24:27], s[2:3] offset:24 glc
	s_waitcnt vmcnt(0)
	buffer_wbinvl1_vol
	v_cmp_ne_u64_e32 vcc, v[2:3], v[26:27]
	s_and_saveexec_b64 s[12:13], vcc
	s_cbranch_execz .LBB14_135
; %bb.132:                              ;   in Loop: Header=BB14_74 Depth=1
	s_mov_b64 s[14:15], 0
.LBB14_133:                             ;   Parent Loop BB14_74 Depth=1
                                        ; =>  This Inner Loop Header: Depth=2
	s_sleep 1
	global_load_dwordx2 v[8:9], v28, s[2:3] offset:40
	global_load_dwordx2 v[24:25], v28, s[2:3]
	v_mov_b32_e32 v27, v3
	v_mov_b32_e32 v26, v2
	s_waitcnt vmcnt(1)
	v_and_b32_e32 v2, v8, v26
	s_waitcnt vmcnt(0)
	v_mad_u64_u32 v[2:3], s[16:17], v2, 24, v[24:25]
	v_and_b32_e32 v8, v9, v27
	v_mad_u64_u32 v[8:9], s[16:17], v8, 24, v[3:4]
	v_mov_b32_e32 v3, v8
	global_load_dwordx2 v[24:25], v[2:3], off glc
	s_waitcnt vmcnt(0)
	global_atomic_cmpswap_x2 v[2:3], v28, v[24:27], s[2:3] offset:24 glc
	s_waitcnt vmcnt(0)
	buffer_wbinvl1_vol
	v_cmp_eq_u64_e32 vcc, v[2:3], v[26:27]
	s_or_b64 s[14:15], vcc, s[14:15]
	s_andn2_b64 exec, exec, s[14:15]
	s_cbranch_execnz .LBB14_133
; %bb.134:                              ;   in Loop: Header=BB14_74 Depth=1
	s_or_b64 exec, exec, s[14:15]
.LBB14_135:                             ;   in Loop: Header=BB14_74 Depth=1
	s_or_b64 exec, exec, s[12:13]
.LBB14_136:                             ;   in Loop: Header=BB14_74 Depth=1
	s_or_b64 exec, exec, s[10:11]
	global_load_dwordx2 v[8:9], v28, s[2:3] offset:40
	global_load_dwordx4 v[24:27], v28, s[2:3]
	v_readfirstlane_b32 s11, v3
	v_readfirstlane_b32 s10, v2
	s_mov_b64 s[12:13], exec
	s_waitcnt vmcnt(1)
	v_readfirstlane_b32 s14, v8
	v_readfirstlane_b32 s15, v9
	s_and_b64 s[14:15], s[14:15], s[10:11]
	s_mul_i32 s16, s15, 24
	s_mul_hi_u32 s17, s14, 24
	s_mul_i32 s18, s14, 24
	s_add_i32 s16, s17, s16
	v_mov_b32_e32 v2, s16
	s_waitcnt vmcnt(0)
	v_add_co_u32_e32 v29, vcc, s18, v24
	v_addc_co_u32_e32 v30, vcc, v25, v2, vcc
	s_and_saveexec_b64 s[16:17], s[0:1]
	s_cbranch_execz .LBB14_138
; %bb.137:                              ;   in Loop: Header=BB14_74 Depth=1
	v_mov_b32_e32 v8, s12
	v_mov_b32_e32 v9, s13
	global_store_dwordx4 v[29:30], v[8:11], off offset:8
.LBB14_138:                             ;   in Loop: Header=BB14_74 Depth=1
	s_or_b64 exec, exec, s[16:17]
	s_lshl_b64 s[12:13], s[14:15], 12
	v_mov_b32_e32 v2, s13
	v_add_co_u32_e32 v8, vcc, s12, v26
	v_addc_co_u32_e32 v9, vcc, v27, v2, vcc
	v_cmp_lt_u64_e64 vcc, s[4:5], 57
	s_lshl_b32 s12, s8, 2
	v_cndmask_b32_e32 v2, 0, v33, vcc
	s_add_i32 s12, s12, 28
	v_and_b32_e32 v3, 0xffffff1f, v4
	s_and_b32 s12, s12, 0x1e0
	v_or_b32_e32 v2, v3, v2
	v_or_b32_e32 v4, s12, v2
	v_readfirstlane_b32 s12, v8
	v_readfirstlane_b32 s13, v9
	s_nop 4
	global_store_dwordx4 v31, v[4:7], s[12:13]
	global_store_dwordx4 v31, v[12:15], s[12:13] offset:16
	global_store_dwordx4 v31, v[16:19], s[12:13] offset:32
	;; [unrolled: 1-line block ×3, first 2 shown]
	s_and_saveexec_b64 s[12:13], s[0:1]
	s_cbranch_execz .LBB14_146
; %bb.139:                              ;   in Loop: Header=BB14_74 Depth=1
	global_load_dwordx2 v[14:15], v28, s[2:3] offset:32 glc
	global_load_dwordx2 v[2:3], v28, s[2:3] offset:40
	v_mov_b32_e32 v12, s10
	v_mov_b32_e32 v13, s11
	s_waitcnt vmcnt(0)
	v_readfirstlane_b32 s14, v2
	v_readfirstlane_b32 s15, v3
	s_and_b64 s[14:15], s[14:15], s[10:11]
	s_mul_i32 s15, s15, 24
	s_mul_hi_u32 s16, s14, 24
	s_mul_i32 s14, s14, 24
	s_add_i32 s15, s16, s15
	v_mov_b32_e32 v2, s15
	v_add_co_u32_e32 v6, vcc, s14, v24
	v_addc_co_u32_e32 v7, vcc, v25, v2, vcc
	global_store_dwordx2 v[6:7], v[14:15], off
	s_waitcnt vmcnt(0)
	global_atomic_cmpswap_x2 v[4:5], v28, v[12:15], s[2:3] offset:32 glc
	s_waitcnt vmcnt(0)
	v_cmp_ne_u64_e32 vcc, v[4:5], v[14:15]
	s_and_saveexec_b64 s[14:15], vcc
	s_cbranch_execz .LBB14_142
; %bb.140:                              ;   in Loop: Header=BB14_74 Depth=1
	s_mov_b64 s[16:17], 0
.LBB14_141:                             ;   Parent Loop BB14_74 Depth=1
                                        ; =>  This Inner Loop Header: Depth=2
	s_sleep 1
	global_store_dwordx2 v[6:7], v[4:5], off
	v_mov_b32_e32 v2, s10
	v_mov_b32_e32 v3, s11
	s_waitcnt vmcnt(0)
	global_atomic_cmpswap_x2 v[2:3], v28, v[2:5], s[2:3] offset:32 glc
	s_waitcnt vmcnt(0)
	v_cmp_eq_u64_e32 vcc, v[2:3], v[4:5]
	v_mov_b32_e32 v5, v3
	s_or_b64 s[16:17], vcc, s[16:17]
	v_mov_b32_e32 v4, v2
	s_andn2_b64 exec, exec, s[16:17]
	s_cbranch_execnz .LBB14_141
.LBB14_142:                             ;   in Loop: Header=BB14_74 Depth=1
	s_or_b64 exec, exec, s[14:15]
	global_load_dwordx2 v[2:3], v28, s[2:3] offset:16
	s_mov_b64 s[16:17], exec
	v_mbcnt_lo_u32_b32 v4, s16, 0
	v_mbcnt_hi_u32_b32 v4, s17, v4
	v_cmp_eq_u32_e32 vcc, 0, v4
	s_and_saveexec_b64 s[14:15], vcc
	s_cbranch_execz .LBB14_144
; %bb.143:                              ;   in Loop: Header=BB14_74 Depth=1
	s_bcnt1_i32_b64 s16, s[16:17]
	v_mov_b32_e32 v27, s16
	s_waitcnt vmcnt(0)
	global_atomic_add_x2 v[2:3], v[27:28], off offset:8
.LBB14_144:                             ;   in Loop: Header=BB14_74 Depth=1
	s_or_b64 exec, exec, s[14:15]
	s_waitcnt vmcnt(0)
	global_load_dwordx2 v[4:5], v[2:3], off offset:16
	s_waitcnt vmcnt(0)
	v_cmp_eq_u64_e32 vcc, 0, v[4:5]
	s_cbranch_vccnz .LBB14_146
; %bb.145:                              ;   in Loop: Header=BB14_74 Depth=1
	global_load_dword v27, v[2:3], off offset:24
	s_waitcnt vmcnt(0)
	v_readfirstlane_b32 s14, v27
	s_and_b32 m0, s14, 0xffffff
	global_store_dwordx2 v[4:5], v[27:28], off
	s_sendmsg sendmsg(MSG_INTERRUPT)
.LBB14_146:                             ;   in Loop: Header=BB14_74 Depth=1
	s_or_b64 exec, exec, s[12:13]
	v_add_co_u32_e32 v2, vcc, v8, v31
	v_addc_co_u32_e32 v3, vcc, 0, v9, vcc
	s_branch .LBB14_150
.LBB14_147:                             ;   in Loop: Header=BB14_150 Depth=2
	s_or_b64 exec, exec, s[12:13]
	v_readfirstlane_b32 s12, v4
	s_cmp_eq_u32 s12, 0
	s_cbranch_scc1 .LBB14_149
; %bb.148:                              ;   in Loop: Header=BB14_150 Depth=2
	s_sleep 1
	s_cbranch_execnz .LBB14_150
	s_branch .LBB14_152
.LBB14_149:                             ;   in Loop: Header=BB14_74 Depth=1
	s_branch .LBB14_152
.LBB14_150:                             ;   Parent Loop BB14_74 Depth=1
                                        ; =>  This Inner Loop Header: Depth=2
	v_mov_b32_e32 v4, 1
	s_and_saveexec_b64 s[12:13], s[0:1]
	s_cbranch_execz .LBB14_147
; %bb.151:                              ;   in Loop: Header=BB14_150 Depth=2
	global_load_dword v4, v[29:30], off offset:20 glc
	s_waitcnt vmcnt(0)
	buffer_wbinvl1_vol
	v_and_b32_e32 v4, 1, v4
	s_branch .LBB14_147
.LBB14_152:                             ;   in Loop: Header=BB14_74 Depth=1
	global_load_dwordx2 v[4:5], v[2:3], off
	s_and_saveexec_b64 s[12:13], s[0:1]
	s_cbranch_execz .LBB14_73
; %bb.153:                              ;   in Loop: Header=BB14_74 Depth=1
	global_load_dwordx2 v[2:3], v28, s[2:3] offset:40
	global_load_dwordx2 v[14:15], v28, s[2:3] offset:24 glc
	global_load_dwordx2 v[6:7], v28, s[2:3]
	s_waitcnt vmcnt(2)
	v_readfirstlane_b32 s14, v2
	v_readfirstlane_b32 s15, v3
	s_add_u32 s16, s14, 1
	s_addc_u32 s17, s15, 0
	s_add_u32 s0, s16, s10
	s_addc_u32 s1, s17, s11
	s_cmp_eq_u64 s[0:1], 0
	s_cselect_b32 s1, s17, s1
	s_cselect_b32 s0, s16, s0
	s_and_b64 s[10:11], s[0:1], s[14:15]
	s_mul_i32 s11, s11, 24
	s_mul_hi_u32 s14, s10, 24
	s_mul_i32 s10, s10, 24
	s_add_i32 s11, s14, s11
	v_mov_b32_e32 v3, s11
	s_waitcnt vmcnt(0)
	v_add_co_u32_e32 v2, vcc, s10, v6
	v_addc_co_u32_e32 v3, vcc, v7, v3, vcc
	v_mov_b32_e32 v12, s0
	global_store_dwordx2 v[2:3], v[14:15], off
	v_mov_b32_e32 v13, s1
	s_waitcnt vmcnt(0)
	global_atomic_cmpswap_x2 v[8:9], v28, v[12:15], s[2:3] offset:24 glc
	s_waitcnt vmcnt(0)
	v_cmp_ne_u64_e32 vcc, v[8:9], v[14:15]
	s_and_b64 exec, exec, vcc
	s_cbranch_execz .LBB14_73
; %bb.154:                              ;   in Loop: Header=BB14_74 Depth=1
	s_mov_b64 s[10:11], 0
.LBB14_155:                             ;   Parent Loop BB14_74 Depth=1
                                        ; =>  This Inner Loop Header: Depth=2
	s_sleep 1
	global_store_dwordx2 v[2:3], v[8:9], off
	v_mov_b32_e32 v6, s0
	v_mov_b32_e32 v7, s1
	s_waitcnt vmcnt(0)
	global_atomic_cmpswap_x2 v[6:7], v28, v[6:9], s[2:3] offset:24 glc
	s_waitcnt vmcnt(0)
	v_cmp_eq_u64_e32 vcc, v[6:7], v[8:9]
	v_mov_b32_e32 v9, v7
	s_or_b64 s[10:11], vcc, s[10:11]
	v_mov_b32_e32 v8, v6
	s_andn2_b64 exec, exec, s[10:11]
	s_cbranch_execnz .LBB14_155
	s_branch .LBB14_73
.LBB14_156:
	s_mov_b64 s[0:1], -1
                                        ; implicit-def: $vgpr4_vgpr5
	s_branch .LBB14_158
.LBB14_157:
	s_mov_b64 s[0:1], 0
.LBB14_158:
	s_and_b64 vcc, exec, s[0:1]
	s_cbranch_vccz .LBB14_185
; %bb.159:
	v_readfirstlane_b32 s0, v32
	v_mov_b32_e32 v8, 0
	v_mov_b32_e32 v9, 0
	v_cmp_eq_u32_e64 s[0:1], s0, v32
	s_and_saveexec_b64 s[4:5], s[0:1]
	s_cbranch_execz .LBB14_165
; %bb.160:
	v_mov_b32_e32 v2, 0
	global_load_dwordx2 v[5:6], v2, s[2:3] offset:24 glc
	s_waitcnt vmcnt(0)
	buffer_wbinvl1_vol
	global_load_dwordx2 v[3:4], v2, s[2:3] offset:40
	global_load_dwordx2 v[7:8], v2, s[2:3]
	s_waitcnt vmcnt(1)
	v_and_b32_e32 v3, v3, v5
	v_and_b32_e32 v4, v4, v6
	v_mul_lo_u32 v4, v4, 24
	v_mul_hi_u32 v9, v3, 24
	v_mul_lo_u32 v3, v3, 24
	v_add_u32_e32 v4, v9, v4
	s_waitcnt vmcnt(0)
	v_add_co_u32_e32 v3, vcc, v7, v3
	v_addc_co_u32_e32 v4, vcc, v8, v4, vcc
	global_load_dwordx2 v[3:4], v[3:4], off glc
	s_waitcnt vmcnt(0)
	global_atomic_cmpswap_x2 v[8:9], v2, v[3:6], s[2:3] offset:24 glc
	s_waitcnt vmcnt(0)
	buffer_wbinvl1_vol
	v_cmp_ne_u64_e32 vcc, v[8:9], v[5:6]
	s_and_saveexec_b64 s[6:7], vcc
	s_cbranch_execz .LBB14_164
; %bb.161:
	s_mov_b64 s[8:9], 0
.LBB14_162:                             ; =>This Inner Loop Header: Depth=1
	s_sleep 1
	global_load_dwordx2 v[3:4], v2, s[2:3] offset:40
	global_load_dwordx2 v[10:11], v2, s[2:3]
	v_mov_b32_e32 v5, v8
	v_mov_b32_e32 v6, v9
	s_waitcnt vmcnt(1)
	v_and_b32_e32 v3, v3, v5
	s_waitcnt vmcnt(0)
	v_mad_u64_u32 v[7:8], s[10:11], v3, 24, v[10:11]
	v_and_b32_e32 v4, v4, v6
	v_mov_b32_e32 v3, v8
	v_mad_u64_u32 v[3:4], s[10:11], v4, 24, v[3:4]
	v_mov_b32_e32 v8, v3
	global_load_dwordx2 v[3:4], v[7:8], off glc
	s_waitcnt vmcnt(0)
	global_atomic_cmpswap_x2 v[8:9], v2, v[3:6], s[2:3] offset:24 glc
	s_waitcnt vmcnt(0)
	buffer_wbinvl1_vol
	v_cmp_eq_u64_e32 vcc, v[8:9], v[5:6]
	s_or_b64 s[8:9], vcc, s[8:9]
	s_andn2_b64 exec, exec, s[8:9]
	s_cbranch_execnz .LBB14_162
; %bb.163:
	s_or_b64 exec, exec, s[8:9]
.LBB14_164:
	s_or_b64 exec, exec, s[6:7]
.LBB14_165:
	s_or_b64 exec, exec, s[4:5]
	v_mov_b32_e32 v2, 0
	global_load_dwordx2 v[10:11], v2, s[2:3] offset:40
	global_load_dwordx4 v[4:7], v2, s[2:3]
	v_readfirstlane_b32 s5, v9
	v_readfirstlane_b32 s4, v8
	s_mov_b64 s[6:7], exec
	s_waitcnt vmcnt(1)
	v_readfirstlane_b32 s8, v10
	v_readfirstlane_b32 s9, v11
	s_and_b64 s[8:9], s[8:9], s[4:5]
	s_mul_i32 s10, s9, 24
	s_mul_hi_u32 s11, s8, 24
	s_mul_i32 s12, s8, 24
	s_add_i32 s10, s11, s10
	v_mov_b32_e32 v3, s10
	s_waitcnt vmcnt(0)
	v_add_co_u32_e32 v8, vcc, s12, v4
	v_addc_co_u32_e32 v9, vcc, v5, v3, vcc
	s_and_saveexec_b64 s[10:11], s[0:1]
	s_cbranch_execz .LBB14_167
; %bb.166:
	v_mov_b32_e32 v11, s7
	v_mov_b32_e32 v10, s6
	;; [unrolled: 1-line block ×4, first 2 shown]
	global_store_dwordx4 v[8:9], v[10:13], off offset:8
.LBB14_167:
	s_or_b64 exec, exec, s[10:11]
	s_lshl_b64 s[6:7], s[8:9], 12
	v_mov_b32_e32 v3, s7
	v_add_co_u32_e32 v10, vcc, s6, v6
	v_addc_co_u32_e32 v11, vcc, v7, v3, vcc
	s_movk_i32 s6, 0xff1f
	v_and_or_b32 v0, v0, s6, 32
	s_mov_b32 s8, 0
	v_mov_b32_e32 v3, v2
	v_readfirstlane_b32 s6, v10
	v_readfirstlane_b32 s7, v11
	v_add_co_u32_e32 v6, vcc, v10, v31
	s_mov_b32 s9, s8
	s_mov_b32 s10, s8
	;; [unrolled: 1-line block ×3, first 2 shown]
	s_nop 0
	global_store_dwordx4 v31, v[0:3], s[6:7]
	v_addc_co_u32_e32 v7, vcc, 0, v11, vcc
	v_mov_b32_e32 v0, s8
	v_mov_b32_e32 v1, s9
	;; [unrolled: 1-line block ×4, first 2 shown]
	global_store_dwordx4 v31, v[0:3], s[6:7] offset:16
	global_store_dwordx4 v31, v[0:3], s[6:7] offset:32
	global_store_dwordx4 v31, v[0:3], s[6:7] offset:48
	s_and_saveexec_b64 s[6:7], s[0:1]
	s_cbranch_execz .LBB14_175
; %bb.168:
	v_mov_b32_e32 v10, 0
	global_load_dwordx2 v[13:14], v10, s[2:3] offset:32 glc
	global_load_dwordx2 v[0:1], v10, s[2:3] offset:40
	v_mov_b32_e32 v11, s4
	v_mov_b32_e32 v12, s5
	s_waitcnt vmcnt(0)
	v_readfirstlane_b32 s8, v0
	v_readfirstlane_b32 s9, v1
	s_and_b64 s[8:9], s[8:9], s[4:5]
	s_mul_i32 s9, s9, 24
	s_mul_hi_u32 s10, s8, 24
	s_mul_i32 s8, s8, 24
	s_add_i32 s9, s10, s9
	v_mov_b32_e32 v0, s9
	v_add_co_u32_e32 v4, vcc, s8, v4
	v_addc_co_u32_e32 v5, vcc, v5, v0, vcc
	global_store_dwordx2 v[4:5], v[13:14], off
	s_waitcnt vmcnt(0)
	global_atomic_cmpswap_x2 v[2:3], v10, v[11:14], s[2:3] offset:32 glc
	s_waitcnt vmcnt(0)
	v_cmp_ne_u64_e32 vcc, v[2:3], v[13:14]
	s_and_saveexec_b64 s[8:9], vcc
	s_cbranch_execz .LBB14_171
; %bb.169:
	s_mov_b64 s[10:11], 0
.LBB14_170:                             ; =>This Inner Loop Header: Depth=1
	s_sleep 1
	global_store_dwordx2 v[4:5], v[2:3], off
	v_mov_b32_e32 v0, s4
	v_mov_b32_e32 v1, s5
	s_waitcnt vmcnt(0)
	global_atomic_cmpswap_x2 v[0:1], v10, v[0:3], s[2:3] offset:32 glc
	s_waitcnt vmcnt(0)
	v_cmp_eq_u64_e32 vcc, v[0:1], v[2:3]
	v_mov_b32_e32 v3, v1
	s_or_b64 s[10:11], vcc, s[10:11]
	v_mov_b32_e32 v2, v0
	s_andn2_b64 exec, exec, s[10:11]
	s_cbranch_execnz .LBB14_170
.LBB14_171:
	s_or_b64 exec, exec, s[8:9]
	v_mov_b32_e32 v3, 0
	global_load_dwordx2 v[0:1], v3, s[2:3] offset:16
	s_mov_b64 s[8:9], exec
	v_mbcnt_lo_u32_b32 v2, s8, 0
	v_mbcnt_hi_u32_b32 v2, s9, v2
	v_cmp_eq_u32_e32 vcc, 0, v2
	s_and_saveexec_b64 s[10:11], vcc
	s_cbranch_execz .LBB14_173
; %bb.172:
	s_bcnt1_i32_b64 s8, s[8:9]
	v_mov_b32_e32 v2, s8
	s_waitcnt vmcnt(0)
	global_atomic_add_x2 v[0:1], v[2:3], off offset:8
.LBB14_173:
	s_or_b64 exec, exec, s[10:11]
	s_waitcnt vmcnt(0)
	global_load_dwordx2 v[2:3], v[0:1], off offset:16
	s_waitcnt vmcnt(0)
	v_cmp_eq_u64_e32 vcc, 0, v[2:3]
	s_cbranch_vccnz .LBB14_175
; %bb.174:
	global_load_dword v0, v[0:1], off offset:24
	v_mov_b32_e32 v1, 0
	s_waitcnt vmcnt(0)
	v_readfirstlane_b32 s8, v0
	s_and_b32 m0, s8, 0xffffff
	global_store_dwordx2 v[2:3], v[0:1], off
	s_sendmsg sendmsg(MSG_INTERRUPT)
.LBB14_175:
	s_or_b64 exec, exec, s[6:7]
	s_branch .LBB14_179
.LBB14_176:                             ;   in Loop: Header=BB14_179 Depth=1
	s_or_b64 exec, exec, s[6:7]
	v_readfirstlane_b32 s6, v0
	s_cmp_eq_u32 s6, 0
	s_cbranch_scc1 .LBB14_178
; %bb.177:                              ;   in Loop: Header=BB14_179 Depth=1
	s_sleep 1
	s_cbranch_execnz .LBB14_179
	s_branch .LBB14_181
.LBB14_178:
	s_branch .LBB14_181
.LBB14_179:                             ; =>This Inner Loop Header: Depth=1
	v_mov_b32_e32 v0, 1
	s_and_saveexec_b64 s[6:7], s[0:1]
	s_cbranch_execz .LBB14_176
; %bb.180:                              ;   in Loop: Header=BB14_179 Depth=1
	global_load_dword v0, v[8:9], off offset:20 glc
	s_waitcnt vmcnt(0)
	buffer_wbinvl1_vol
	v_and_b32_e32 v0, 1, v0
	s_branch .LBB14_176
.LBB14_181:
	global_load_dwordx2 v[4:5], v[6:7], off
	s_and_saveexec_b64 s[6:7], s[0:1]
	s_cbranch_execz .LBB14_184
; %bb.182:
	v_mov_b32_e32 v8, 0
	global_load_dwordx2 v[0:1], v8, s[2:3] offset:40
	global_load_dwordx2 v[11:12], v8, s[2:3] offset:24 glc
	global_load_dwordx2 v[2:3], v8, s[2:3]
	s_waitcnt vmcnt(2)
	v_readfirstlane_b32 s8, v0
	v_readfirstlane_b32 s9, v1
	s_add_u32 s10, s8, 1
	s_addc_u32 s11, s9, 0
	s_add_u32 s0, s10, s4
	s_addc_u32 s1, s11, s5
	s_cmp_eq_u64 s[0:1], 0
	s_cselect_b32 s1, s11, s1
	s_cselect_b32 s0, s10, s0
	s_and_b64 s[4:5], s[0:1], s[8:9]
	s_mul_i32 s5, s5, 24
	s_mul_hi_u32 s8, s4, 24
	s_mul_i32 s4, s4, 24
	s_add_i32 s5, s8, s5
	v_mov_b32_e32 v0, s5
	s_waitcnt vmcnt(0)
	v_add_co_u32_e32 v6, vcc, s4, v2
	v_addc_co_u32_e32 v7, vcc, v3, v0, vcc
	v_mov_b32_e32 v9, s0
	global_store_dwordx2 v[6:7], v[11:12], off
	v_mov_b32_e32 v10, s1
	s_waitcnt vmcnt(0)
	global_atomic_cmpswap_x2 v[2:3], v8, v[9:12], s[2:3] offset:24 glc
	s_mov_b64 s[4:5], 0
	s_waitcnt vmcnt(0)
	v_cmp_ne_u64_e32 vcc, v[2:3], v[11:12]
	s_and_b64 exec, exec, vcc
	s_cbranch_execz .LBB14_184
.LBB14_183:                             ; =>This Inner Loop Header: Depth=1
	s_sleep 1
	global_store_dwordx2 v[6:7], v[2:3], off
	v_mov_b32_e32 v0, s0
	v_mov_b32_e32 v1, s1
	s_waitcnt vmcnt(0)
	global_atomic_cmpswap_x2 v[0:1], v8, v[0:3], s[2:3] offset:24 glc
	s_waitcnt vmcnt(0)
	v_cmp_eq_u64_e32 vcc, v[0:1], v[2:3]
	v_mov_b32_e32 v3, v1
	s_or_b64 s[4:5], vcc, s[4:5]
	v_mov_b32_e32 v2, v0
	s_andn2_b64 exec, exec, s[4:5]
	s_cbranch_execnz .LBB14_183
.LBB14_184:
	s_or_b64 exec, exec, s[6:7]
.LBB14_185:
	s_getpc_b64 s[4:5]
	s_add_u32 s4, s4, .str.1@rel32@lo+4
	s_addc_u32 s5, s5, .str.1@rel32@hi+12
	s_cmp_lg_u64 s[4:5], 0
	s_cbranch_scc0 .LBB14_270
; %bb.186:
	s_waitcnt vmcnt(0)
	v_and_b32_e32 v29, 2, v4
	v_mov_b32_e32 v26, 0
	v_and_b32_e32 v0, -3, v4
	v_mov_b32_e32 v1, v5
	s_mov_b64 s[6:7], 0x61
	v_mov_b32_e32 v8, 2
	v_mov_b32_e32 v9, 1
	s_branch .LBB14_188
.LBB14_187:                             ;   in Loop: Header=BB14_188 Depth=1
	s_or_b64 exec, exec, s[12:13]
	s_sub_u32 s6, s6, s8
	s_subb_u32 s7, s7, s9
	s_add_u32 s4, s4, s8
	s_addc_u32 s5, s5, s9
	s_cmp_lg_u64 s[6:7], 0
	s_cbranch_scc0 .LBB14_271
.LBB14_188:                             ; =>This Loop Header: Depth=1
                                        ;     Child Loop BB14_191 Depth 2
                                        ;     Child Loop BB14_199 Depth 2
	;; [unrolled: 1-line block ×11, first 2 shown]
	v_cmp_lt_u64_e64 s[0:1], s[6:7], 56
	v_cmp_gt_u64_e64 s[10:11], s[6:7], 7
	s_and_b64 s[0:1], s[0:1], exec
	s_cselect_b32 s9, s7, 0
	s_cselect_b32 s8, s6, 56
	s_add_u32 s0, s4, 8
	s_addc_u32 s1, s5, 0
	s_and_b64 vcc, exec, s[10:11]
	s_cbranch_vccnz .LBB14_192
; %bb.189:                              ;   in Loop: Header=BB14_188 Depth=1
	s_cmp_eq_u64 s[6:7], 0
	s_cbranch_scc1 .LBB14_193
; %bb.190:                              ;   in Loop: Header=BB14_188 Depth=1
	v_mov_b32_e32 v2, 0
	s_lshl_b64 s[0:1], s[8:9], 3
	s_mov_b64 s[10:11], 0
	v_mov_b32_e32 v3, 0
	s_mov_b64 s[12:13], s[4:5]
.LBB14_191:                             ;   Parent Loop BB14_188 Depth=1
                                        ; =>  This Inner Loop Header: Depth=2
	global_load_ubyte v6, v26, s[12:13]
	s_waitcnt vmcnt(0)
	v_and_b32_e32 v25, 0xffff, v6
	v_lshlrev_b64 v[6:7], s10, v[25:26]
	s_add_u32 s10, s10, 8
	s_addc_u32 s11, s11, 0
	s_add_u32 s12, s12, 1
	s_addc_u32 s13, s13, 0
	v_or_b32_e32 v2, v6, v2
	s_cmp_lg_u32 s0, s10
	v_or_b32_e32 v3, v7, v3
	s_cbranch_scc1 .LBB14_191
	s_branch .LBB14_194
.LBB14_192:                             ;   in Loop: Header=BB14_188 Depth=1
	s_mov_b32 s14, 0
	s_branch .LBB14_195
.LBB14_193:                             ;   in Loop: Header=BB14_188 Depth=1
	v_mov_b32_e32 v2, 0
	v_mov_b32_e32 v3, 0
.LBB14_194:                             ;   in Loop: Header=BB14_188 Depth=1
	s_mov_b64 s[0:1], s[4:5]
	s_mov_b32 s14, 0
	s_cbranch_execnz .LBB14_196
.LBB14_195:                             ;   in Loop: Header=BB14_188 Depth=1
	global_load_dwordx2 v[2:3], v26, s[4:5]
	s_add_i32 s14, s8, -8
.LBB14_196:                             ;   in Loop: Header=BB14_188 Depth=1
	s_add_u32 s10, s0, 8
	s_addc_u32 s11, s1, 0
	s_cmp_gt_u32 s14, 7
	s_cbranch_scc1 .LBB14_200
; %bb.197:                              ;   in Loop: Header=BB14_188 Depth=1
	s_cmp_eq_u32 s14, 0
	s_cbranch_scc1 .LBB14_201
; %bb.198:                              ;   in Loop: Header=BB14_188 Depth=1
	v_mov_b32_e32 v10, 0
	s_mov_b64 s[10:11], 0
	v_mov_b32_e32 v11, 0
	s_mov_b64 s[12:13], 0
.LBB14_199:                             ;   Parent Loop BB14_188 Depth=1
                                        ; =>  This Inner Loop Header: Depth=2
	s_add_u32 s16, s0, s12
	s_addc_u32 s17, s1, s13
	global_load_ubyte v6, v26, s[16:17]
	s_add_u32 s12, s12, 1
	s_addc_u32 s13, s13, 0
	s_waitcnt vmcnt(0)
	v_and_b32_e32 v25, 0xffff, v6
	v_lshlrev_b64 v[6:7], s10, v[25:26]
	s_add_u32 s10, s10, 8
	s_addc_u32 s11, s11, 0
	v_or_b32_e32 v10, v6, v10
	s_cmp_lg_u32 s14, s12
	v_or_b32_e32 v11, v7, v11
	s_cbranch_scc1 .LBB14_199
	s_branch .LBB14_202
.LBB14_200:                             ;   in Loop: Header=BB14_188 Depth=1
                                        ; implicit-def: $vgpr10_vgpr11
	s_mov_b32 s15, 0
	s_branch .LBB14_203
.LBB14_201:                             ;   in Loop: Header=BB14_188 Depth=1
	v_mov_b32_e32 v10, 0
	v_mov_b32_e32 v11, 0
.LBB14_202:                             ;   in Loop: Header=BB14_188 Depth=1
	s_mov_b64 s[10:11], s[0:1]
	s_mov_b32 s15, 0
	s_cbranch_execnz .LBB14_204
.LBB14_203:                             ;   in Loop: Header=BB14_188 Depth=1
	global_load_dwordx2 v[10:11], v26, s[0:1]
	s_add_i32 s15, s14, -8
.LBB14_204:                             ;   in Loop: Header=BB14_188 Depth=1
	s_add_u32 s0, s10, 8
	s_addc_u32 s1, s11, 0
	s_cmp_gt_u32 s15, 7
	s_cbranch_scc1 .LBB14_208
; %bb.205:                              ;   in Loop: Header=BB14_188 Depth=1
	s_cmp_eq_u32 s15, 0
	s_cbranch_scc1 .LBB14_209
; %bb.206:                              ;   in Loop: Header=BB14_188 Depth=1
	v_mov_b32_e32 v12, 0
	s_mov_b64 s[0:1], 0
	v_mov_b32_e32 v13, 0
	s_mov_b64 s[12:13], 0
.LBB14_207:                             ;   Parent Loop BB14_188 Depth=1
                                        ; =>  This Inner Loop Header: Depth=2
	s_add_u32 s16, s10, s12
	s_addc_u32 s17, s11, s13
	global_load_ubyte v6, v26, s[16:17]
	s_add_u32 s12, s12, 1
	s_addc_u32 s13, s13, 0
	s_waitcnt vmcnt(0)
	v_and_b32_e32 v25, 0xffff, v6
	v_lshlrev_b64 v[6:7], s0, v[25:26]
	s_add_u32 s0, s0, 8
	s_addc_u32 s1, s1, 0
	v_or_b32_e32 v12, v6, v12
	s_cmp_lg_u32 s15, s12
	v_or_b32_e32 v13, v7, v13
	s_cbranch_scc1 .LBB14_207
	s_branch .LBB14_210
.LBB14_208:                             ;   in Loop: Header=BB14_188 Depth=1
	s_mov_b32 s14, 0
	s_branch .LBB14_211
.LBB14_209:                             ;   in Loop: Header=BB14_188 Depth=1
	v_mov_b32_e32 v12, 0
	v_mov_b32_e32 v13, 0
.LBB14_210:                             ;   in Loop: Header=BB14_188 Depth=1
	s_mov_b64 s[0:1], s[10:11]
	s_mov_b32 s14, 0
	s_cbranch_execnz .LBB14_212
.LBB14_211:                             ;   in Loop: Header=BB14_188 Depth=1
	global_load_dwordx2 v[12:13], v26, s[10:11]
	s_add_i32 s14, s15, -8
.LBB14_212:                             ;   in Loop: Header=BB14_188 Depth=1
	s_add_u32 s10, s0, 8
	s_addc_u32 s11, s1, 0
	s_cmp_gt_u32 s14, 7
	s_cbranch_scc1 .LBB14_216
; %bb.213:                              ;   in Loop: Header=BB14_188 Depth=1
	s_cmp_eq_u32 s14, 0
	s_cbranch_scc1 .LBB14_217
; %bb.214:                              ;   in Loop: Header=BB14_188 Depth=1
	v_mov_b32_e32 v14, 0
	s_mov_b64 s[10:11], 0
	v_mov_b32_e32 v15, 0
	s_mov_b64 s[12:13], 0
.LBB14_215:                             ;   Parent Loop BB14_188 Depth=1
                                        ; =>  This Inner Loop Header: Depth=2
	s_add_u32 s16, s0, s12
	s_addc_u32 s17, s1, s13
	global_load_ubyte v6, v26, s[16:17]
	s_add_u32 s12, s12, 1
	s_addc_u32 s13, s13, 0
	s_waitcnt vmcnt(0)
	v_and_b32_e32 v25, 0xffff, v6
	v_lshlrev_b64 v[6:7], s10, v[25:26]
	s_add_u32 s10, s10, 8
	s_addc_u32 s11, s11, 0
	v_or_b32_e32 v14, v6, v14
	s_cmp_lg_u32 s14, s12
	v_or_b32_e32 v15, v7, v15
	s_cbranch_scc1 .LBB14_215
	s_branch .LBB14_218
.LBB14_216:                             ;   in Loop: Header=BB14_188 Depth=1
                                        ; implicit-def: $vgpr14_vgpr15
	s_mov_b32 s15, 0
	s_branch .LBB14_219
.LBB14_217:                             ;   in Loop: Header=BB14_188 Depth=1
	v_mov_b32_e32 v14, 0
	v_mov_b32_e32 v15, 0
.LBB14_218:                             ;   in Loop: Header=BB14_188 Depth=1
	s_mov_b64 s[10:11], s[0:1]
	s_mov_b32 s15, 0
	s_cbranch_execnz .LBB14_220
.LBB14_219:                             ;   in Loop: Header=BB14_188 Depth=1
	global_load_dwordx2 v[14:15], v26, s[0:1]
	s_add_i32 s15, s14, -8
.LBB14_220:                             ;   in Loop: Header=BB14_188 Depth=1
	s_add_u32 s0, s10, 8
	s_addc_u32 s1, s11, 0
	s_cmp_gt_u32 s15, 7
	s_cbranch_scc1 .LBB14_224
; %bb.221:                              ;   in Loop: Header=BB14_188 Depth=1
	s_cmp_eq_u32 s15, 0
	s_cbranch_scc1 .LBB14_225
; %bb.222:                              ;   in Loop: Header=BB14_188 Depth=1
	v_mov_b32_e32 v16, 0
	s_mov_b64 s[0:1], 0
	v_mov_b32_e32 v17, 0
	s_mov_b64 s[12:13], 0
.LBB14_223:                             ;   Parent Loop BB14_188 Depth=1
                                        ; =>  This Inner Loop Header: Depth=2
	s_add_u32 s16, s10, s12
	s_addc_u32 s17, s11, s13
	global_load_ubyte v6, v26, s[16:17]
	s_add_u32 s12, s12, 1
	s_addc_u32 s13, s13, 0
	s_waitcnt vmcnt(0)
	v_and_b32_e32 v25, 0xffff, v6
	v_lshlrev_b64 v[6:7], s0, v[25:26]
	s_add_u32 s0, s0, 8
	s_addc_u32 s1, s1, 0
	v_or_b32_e32 v16, v6, v16
	s_cmp_lg_u32 s15, s12
	v_or_b32_e32 v17, v7, v17
	s_cbranch_scc1 .LBB14_223
	s_branch .LBB14_226
.LBB14_224:                             ;   in Loop: Header=BB14_188 Depth=1
	s_mov_b32 s14, 0
	s_branch .LBB14_227
.LBB14_225:                             ;   in Loop: Header=BB14_188 Depth=1
	v_mov_b32_e32 v16, 0
	v_mov_b32_e32 v17, 0
.LBB14_226:                             ;   in Loop: Header=BB14_188 Depth=1
	s_mov_b64 s[0:1], s[10:11]
	s_mov_b32 s14, 0
	s_cbranch_execnz .LBB14_228
.LBB14_227:                             ;   in Loop: Header=BB14_188 Depth=1
	global_load_dwordx2 v[16:17], v26, s[10:11]
	s_add_i32 s14, s15, -8
.LBB14_228:                             ;   in Loop: Header=BB14_188 Depth=1
	s_add_u32 s10, s0, 8
	s_addc_u32 s11, s1, 0
	s_cmp_gt_u32 s14, 7
	s_cbranch_scc1 .LBB14_232
; %bb.229:                              ;   in Loop: Header=BB14_188 Depth=1
	s_cmp_eq_u32 s14, 0
	s_cbranch_scc1 .LBB14_233
; %bb.230:                              ;   in Loop: Header=BB14_188 Depth=1
	v_mov_b32_e32 v18, 0
	s_mov_b64 s[10:11], 0
	v_mov_b32_e32 v19, 0
	s_mov_b64 s[12:13], 0
.LBB14_231:                             ;   Parent Loop BB14_188 Depth=1
                                        ; =>  This Inner Loop Header: Depth=2
	s_add_u32 s16, s0, s12
	s_addc_u32 s17, s1, s13
	global_load_ubyte v6, v26, s[16:17]
	s_add_u32 s12, s12, 1
	s_addc_u32 s13, s13, 0
	s_waitcnt vmcnt(0)
	v_and_b32_e32 v25, 0xffff, v6
	v_lshlrev_b64 v[6:7], s10, v[25:26]
	s_add_u32 s10, s10, 8
	s_addc_u32 s11, s11, 0
	v_or_b32_e32 v18, v6, v18
	s_cmp_lg_u32 s14, s12
	v_or_b32_e32 v19, v7, v19
	s_cbranch_scc1 .LBB14_231
	s_branch .LBB14_234
.LBB14_232:                             ;   in Loop: Header=BB14_188 Depth=1
                                        ; implicit-def: $vgpr18_vgpr19
	s_mov_b32 s15, 0
	s_branch .LBB14_235
.LBB14_233:                             ;   in Loop: Header=BB14_188 Depth=1
	v_mov_b32_e32 v18, 0
	v_mov_b32_e32 v19, 0
.LBB14_234:                             ;   in Loop: Header=BB14_188 Depth=1
	s_mov_b64 s[10:11], s[0:1]
	s_mov_b32 s15, 0
	s_cbranch_execnz .LBB14_236
.LBB14_235:                             ;   in Loop: Header=BB14_188 Depth=1
	global_load_dwordx2 v[18:19], v26, s[0:1]
	s_add_i32 s15, s14, -8
.LBB14_236:                             ;   in Loop: Header=BB14_188 Depth=1
	s_cmp_gt_u32 s15, 7
	s_cbranch_scc1 .LBB14_240
; %bb.237:                              ;   in Loop: Header=BB14_188 Depth=1
	s_cmp_eq_u32 s15, 0
	s_cbranch_scc1 .LBB14_241
; %bb.238:                              ;   in Loop: Header=BB14_188 Depth=1
	v_mov_b32_e32 v20, 0
	s_mov_b64 s[0:1], 0
	v_mov_b32_e32 v21, 0
	s_mov_b64 s[12:13], s[10:11]
.LBB14_239:                             ;   Parent Loop BB14_188 Depth=1
                                        ; =>  This Inner Loop Header: Depth=2
	global_load_ubyte v6, v26, s[12:13]
	s_add_i32 s15, s15, -1
	s_waitcnt vmcnt(0)
	v_and_b32_e32 v25, 0xffff, v6
	v_lshlrev_b64 v[6:7], s0, v[25:26]
	s_add_u32 s0, s0, 8
	s_addc_u32 s1, s1, 0
	s_add_u32 s12, s12, 1
	s_addc_u32 s13, s13, 0
	v_or_b32_e32 v20, v6, v20
	s_cmp_lg_u32 s15, 0
	v_or_b32_e32 v21, v7, v21
	s_cbranch_scc1 .LBB14_239
	s_branch .LBB14_242
.LBB14_240:                             ;   in Loop: Header=BB14_188 Depth=1
	s_branch .LBB14_243
.LBB14_241:                             ;   in Loop: Header=BB14_188 Depth=1
	v_mov_b32_e32 v20, 0
	v_mov_b32_e32 v21, 0
.LBB14_242:                             ;   in Loop: Header=BB14_188 Depth=1
	s_cbranch_execnz .LBB14_244
.LBB14_243:                             ;   in Loop: Header=BB14_188 Depth=1
	global_load_dwordx2 v[20:21], v26, s[10:11]
.LBB14_244:                             ;   in Loop: Header=BB14_188 Depth=1
	v_readfirstlane_b32 s0, v32
	v_mov_b32_e32 v6, 0
	v_mov_b32_e32 v7, 0
	v_cmp_eq_u32_e64 s[0:1], s0, v32
	s_and_saveexec_b64 s[10:11], s[0:1]
	s_cbranch_execz .LBB14_250
; %bb.245:                              ;   in Loop: Header=BB14_188 Depth=1
	global_load_dwordx2 v[24:25], v26, s[2:3] offset:24 glc
	s_waitcnt vmcnt(0)
	buffer_wbinvl1_vol
	global_load_dwordx2 v[6:7], v26, s[2:3] offset:40
	global_load_dwordx2 v[22:23], v26, s[2:3]
	s_waitcnt vmcnt(1)
	v_and_b32_e32 v6, v6, v24
	v_and_b32_e32 v7, v7, v25
	v_mul_lo_u32 v7, v7, 24
	v_mul_hi_u32 v27, v6, 24
	v_mul_lo_u32 v6, v6, 24
	v_add_u32_e32 v7, v27, v7
	s_waitcnt vmcnt(0)
	v_add_co_u32_e32 v6, vcc, v22, v6
	v_addc_co_u32_e32 v7, vcc, v23, v7, vcc
	global_load_dwordx2 v[22:23], v[6:7], off glc
	s_waitcnt vmcnt(0)
	global_atomic_cmpswap_x2 v[6:7], v26, v[22:25], s[2:3] offset:24 glc
	s_waitcnt vmcnt(0)
	buffer_wbinvl1_vol
	v_cmp_ne_u64_e32 vcc, v[6:7], v[24:25]
	s_and_saveexec_b64 s[12:13], vcc
	s_cbranch_execz .LBB14_249
; %bb.246:                              ;   in Loop: Header=BB14_188 Depth=1
	s_mov_b64 s[14:15], 0
.LBB14_247:                             ;   Parent Loop BB14_188 Depth=1
                                        ; =>  This Inner Loop Header: Depth=2
	s_sleep 1
	global_load_dwordx2 v[22:23], v26, s[2:3] offset:40
	global_load_dwordx2 v[27:28], v26, s[2:3]
	v_mov_b32_e32 v25, v7
	v_mov_b32_e32 v24, v6
	s_waitcnt vmcnt(1)
	v_and_b32_e32 v6, v22, v24
	s_waitcnt vmcnt(0)
	v_mad_u64_u32 v[6:7], s[16:17], v6, 24, v[27:28]
	v_and_b32_e32 v22, v23, v25
	v_mad_u64_u32 v[22:23], s[16:17], v22, 24, v[7:8]
	v_mov_b32_e32 v7, v22
	global_load_dwordx2 v[22:23], v[6:7], off glc
	s_waitcnt vmcnt(0)
	global_atomic_cmpswap_x2 v[6:7], v26, v[22:25], s[2:3] offset:24 glc
	s_waitcnt vmcnt(0)
	buffer_wbinvl1_vol
	v_cmp_eq_u64_e32 vcc, v[6:7], v[24:25]
	s_or_b64 s[14:15], vcc, s[14:15]
	s_andn2_b64 exec, exec, s[14:15]
	s_cbranch_execnz .LBB14_247
; %bb.248:                              ;   in Loop: Header=BB14_188 Depth=1
	s_or_b64 exec, exec, s[14:15]
.LBB14_249:                             ;   in Loop: Header=BB14_188 Depth=1
	s_or_b64 exec, exec, s[12:13]
.LBB14_250:                             ;   in Loop: Header=BB14_188 Depth=1
	s_or_b64 exec, exec, s[10:11]
	global_load_dwordx2 v[27:28], v26, s[2:3] offset:40
	global_load_dwordx4 v[22:25], v26, s[2:3]
	v_readfirstlane_b32 s11, v7
	v_readfirstlane_b32 s10, v6
	s_mov_b64 s[12:13], exec
	s_waitcnt vmcnt(1)
	v_readfirstlane_b32 s14, v27
	v_readfirstlane_b32 s15, v28
	s_and_b64 s[14:15], s[14:15], s[10:11]
	s_mul_i32 s16, s15, 24
	s_mul_hi_u32 s17, s14, 24
	s_mul_i32 s18, s14, 24
	s_add_i32 s16, s17, s16
	v_mov_b32_e32 v6, s16
	s_waitcnt vmcnt(0)
	v_add_co_u32_e32 v27, vcc, s18, v22
	v_addc_co_u32_e32 v28, vcc, v23, v6, vcc
	s_and_saveexec_b64 s[16:17], s[0:1]
	s_cbranch_execz .LBB14_252
; %bb.251:                              ;   in Loop: Header=BB14_188 Depth=1
	v_mov_b32_e32 v6, s12
	v_mov_b32_e32 v7, s13
	global_store_dwordx4 v[27:28], v[6:9], off offset:8
.LBB14_252:                             ;   in Loop: Header=BB14_188 Depth=1
	s_or_b64 exec, exec, s[16:17]
	s_lshl_b64 s[12:13], s[14:15], 12
	v_mov_b32_e32 v6, s13
	v_add_co_u32_e32 v24, vcc, s12, v24
	v_addc_co_u32_e32 v30, vcc, v25, v6, vcc
	v_cmp_lt_u64_e64 vcc, s[6:7], 57
	s_lshl_b32 s12, s8, 2
	v_cndmask_b32_e32 v6, 0, v29, vcc
	s_add_i32 s12, s12, 28
	v_and_b32_e32 v0, 0xffffff1f, v0
	s_and_b32 s12, s12, 0x1e0
	v_or_b32_e32 v0, v0, v6
	v_or_b32_e32 v0, s12, v0
	v_readfirstlane_b32 s12, v24
	v_readfirstlane_b32 s13, v30
	s_nop 4
	global_store_dwordx4 v31, v[0:3], s[12:13]
	global_store_dwordx4 v31, v[10:13], s[12:13] offset:16
	global_store_dwordx4 v31, v[14:17], s[12:13] offset:32
	;; [unrolled: 1-line block ×3, first 2 shown]
	s_and_saveexec_b64 s[12:13], s[0:1]
	s_cbranch_execz .LBB14_260
; %bb.253:                              ;   in Loop: Header=BB14_188 Depth=1
	global_load_dwordx2 v[12:13], v26, s[2:3] offset:32 glc
	global_load_dwordx2 v[0:1], v26, s[2:3] offset:40
	v_mov_b32_e32 v10, s10
	v_mov_b32_e32 v11, s11
	s_waitcnt vmcnt(0)
	v_readfirstlane_b32 s14, v0
	v_readfirstlane_b32 s15, v1
	s_and_b64 s[14:15], s[14:15], s[10:11]
	s_mul_i32 s15, s15, 24
	s_mul_hi_u32 s16, s14, 24
	s_mul_i32 s14, s14, 24
	s_add_i32 s15, s16, s15
	v_mov_b32_e32 v0, s15
	v_add_co_u32_e32 v6, vcc, s14, v22
	v_addc_co_u32_e32 v7, vcc, v23, v0, vcc
	global_store_dwordx2 v[6:7], v[12:13], off
	s_waitcnt vmcnt(0)
	global_atomic_cmpswap_x2 v[2:3], v26, v[10:13], s[2:3] offset:32 glc
	s_waitcnt vmcnt(0)
	v_cmp_ne_u64_e32 vcc, v[2:3], v[12:13]
	s_and_saveexec_b64 s[14:15], vcc
	s_cbranch_execz .LBB14_256
; %bb.254:                              ;   in Loop: Header=BB14_188 Depth=1
	s_mov_b64 s[16:17], 0
.LBB14_255:                             ;   Parent Loop BB14_188 Depth=1
                                        ; =>  This Inner Loop Header: Depth=2
	s_sleep 1
	global_store_dwordx2 v[6:7], v[2:3], off
	v_mov_b32_e32 v0, s10
	v_mov_b32_e32 v1, s11
	s_waitcnt vmcnt(0)
	global_atomic_cmpswap_x2 v[0:1], v26, v[0:3], s[2:3] offset:32 glc
	s_waitcnt vmcnt(0)
	v_cmp_eq_u64_e32 vcc, v[0:1], v[2:3]
	v_mov_b32_e32 v3, v1
	s_or_b64 s[16:17], vcc, s[16:17]
	v_mov_b32_e32 v2, v0
	s_andn2_b64 exec, exec, s[16:17]
	s_cbranch_execnz .LBB14_255
.LBB14_256:                             ;   in Loop: Header=BB14_188 Depth=1
	s_or_b64 exec, exec, s[14:15]
	global_load_dwordx2 v[0:1], v26, s[2:3] offset:16
	s_mov_b64 s[16:17], exec
	v_mbcnt_lo_u32_b32 v2, s16, 0
	v_mbcnt_hi_u32_b32 v2, s17, v2
	v_cmp_eq_u32_e32 vcc, 0, v2
	s_and_saveexec_b64 s[14:15], vcc
	s_cbranch_execz .LBB14_258
; %bb.257:                              ;   in Loop: Header=BB14_188 Depth=1
	s_bcnt1_i32_b64 s16, s[16:17]
	v_mov_b32_e32 v25, s16
	s_waitcnt vmcnt(0)
	global_atomic_add_x2 v[0:1], v[25:26], off offset:8
.LBB14_258:                             ;   in Loop: Header=BB14_188 Depth=1
	s_or_b64 exec, exec, s[14:15]
	s_waitcnt vmcnt(0)
	global_load_dwordx2 v[2:3], v[0:1], off offset:16
	s_waitcnt vmcnt(0)
	v_cmp_eq_u64_e32 vcc, 0, v[2:3]
	s_cbranch_vccnz .LBB14_260
; %bb.259:                              ;   in Loop: Header=BB14_188 Depth=1
	global_load_dword v25, v[0:1], off offset:24
	s_waitcnt vmcnt(0)
	v_readfirstlane_b32 s14, v25
	s_and_b32 m0, s14, 0xffffff
	global_store_dwordx2 v[2:3], v[25:26], off
	s_sendmsg sendmsg(MSG_INTERRUPT)
.LBB14_260:                             ;   in Loop: Header=BB14_188 Depth=1
	s_or_b64 exec, exec, s[12:13]
	v_add_co_u32_e32 v0, vcc, v24, v31
	v_addc_co_u32_e32 v1, vcc, 0, v30, vcc
	s_branch .LBB14_264
.LBB14_261:                             ;   in Loop: Header=BB14_264 Depth=2
	s_or_b64 exec, exec, s[12:13]
	v_readfirstlane_b32 s12, v2
	s_cmp_eq_u32 s12, 0
	s_cbranch_scc1 .LBB14_263
; %bb.262:                              ;   in Loop: Header=BB14_264 Depth=2
	s_sleep 1
	s_cbranch_execnz .LBB14_264
	s_branch .LBB14_266
.LBB14_263:                             ;   in Loop: Header=BB14_188 Depth=1
	s_branch .LBB14_266
.LBB14_264:                             ;   Parent Loop BB14_188 Depth=1
                                        ; =>  This Inner Loop Header: Depth=2
	v_mov_b32_e32 v2, 1
	s_and_saveexec_b64 s[12:13], s[0:1]
	s_cbranch_execz .LBB14_261
; %bb.265:                              ;   in Loop: Header=BB14_264 Depth=2
	global_load_dword v2, v[27:28], off offset:20 glc
	s_waitcnt vmcnt(0)
	buffer_wbinvl1_vol
	v_and_b32_e32 v2, 1, v2
	s_branch .LBB14_261
.LBB14_266:                             ;   in Loop: Header=BB14_188 Depth=1
	global_load_dwordx2 v[0:1], v[0:1], off
	s_and_saveexec_b64 s[12:13], s[0:1]
	s_cbranch_execz .LBB14_187
; %bb.267:                              ;   in Loop: Header=BB14_188 Depth=1
	global_load_dwordx2 v[2:3], v26, s[2:3] offset:40
	global_load_dwordx2 v[14:15], v26, s[2:3] offset:24 glc
	global_load_dwordx2 v[6:7], v26, s[2:3]
	s_waitcnt vmcnt(2)
	v_readfirstlane_b32 s14, v2
	v_readfirstlane_b32 s15, v3
	s_add_u32 s16, s14, 1
	s_addc_u32 s17, s15, 0
	s_add_u32 s0, s16, s10
	s_addc_u32 s1, s17, s11
	s_cmp_eq_u64 s[0:1], 0
	s_cselect_b32 s1, s17, s1
	s_cselect_b32 s0, s16, s0
	s_and_b64 s[10:11], s[0:1], s[14:15]
	s_mul_i32 s11, s11, 24
	s_mul_hi_u32 s14, s10, 24
	s_mul_i32 s10, s10, 24
	s_add_i32 s11, s14, s11
	v_mov_b32_e32 v3, s11
	s_waitcnt vmcnt(0)
	v_add_co_u32_e32 v2, vcc, s10, v6
	v_addc_co_u32_e32 v3, vcc, v7, v3, vcc
	v_mov_b32_e32 v12, s0
	global_store_dwordx2 v[2:3], v[14:15], off
	v_mov_b32_e32 v13, s1
	s_waitcnt vmcnt(0)
	global_atomic_cmpswap_x2 v[12:13], v26, v[12:15], s[2:3] offset:24 glc
	s_waitcnt vmcnt(0)
	v_cmp_ne_u64_e32 vcc, v[12:13], v[14:15]
	s_and_b64 exec, exec, vcc
	s_cbranch_execz .LBB14_187
; %bb.268:                              ;   in Loop: Header=BB14_188 Depth=1
	s_mov_b64 s[10:11], 0
.LBB14_269:                             ;   Parent Loop BB14_188 Depth=1
                                        ; =>  This Inner Loop Header: Depth=2
	s_sleep 1
	global_store_dwordx2 v[2:3], v[12:13], off
	v_mov_b32_e32 v10, s0
	v_mov_b32_e32 v11, s1
	s_waitcnt vmcnt(0)
	global_atomic_cmpswap_x2 v[6:7], v26, v[10:13], s[2:3] offset:24 glc
	s_waitcnt vmcnt(0)
	v_cmp_eq_u64_e32 vcc, v[6:7], v[12:13]
	v_mov_b32_e32 v13, v7
	s_or_b64 s[10:11], vcc, s[10:11]
	v_mov_b32_e32 v12, v6
	s_andn2_b64 exec, exec, s[10:11]
	s_cbranch_execnz .LBB14_269
	s_branch .LBB14_187
.LBB14_270:
	s_mov_b64 s[0:1], -1
                                        ; implicit-def: $vgpr0_vgpr1
	s_branch .LBB14_272
.LBB14_271:
	s_mov_b64 s[0:1], 0
.LBB14_272:
	s_and_b64 vcc, exec, s[0:1]
	s_cbranch_vccz .LBB14_299
; %bb.273:
	v_readfirstlane_b32 s0, v32
	v_mov_b32_e32 v7, 0
	v_mov_b32_e32 v8, 0
	v_cmp_eq_u32_e64 s[0:1], s0, v32
	s_and_saveexec_b64 s[4:5], s[0:1]
	s_cbranch_execz .LBB14_279
; %bb.274:
	s_waitcnt vmcnt(0)
	v_mov_b32_e32 v0, 0
	global_load_dwordx2 v[9:10], v0, s[2:3] offset:24 glc
	s_waitcnt vmcnt(0)
	buffer_wbinvl1_vol
	global_load_dwordx2 v[1:2], v0, s[2:3] offset:40
	global_load_dwordx2 v[6:7], v0, s[2:3]
	s_waitcnt vmcnt(1)
	v_and_b32_e32 v1, v1, v9
	v_and_b32_e32 v2, v2, v10
	v_mul_lo_u32 v2, v2, 24
	v_mul_hi_u32 v3, v1, 24
	v_mul_lo_u32 v1, v1, 24
	v_add_u32_e32 v2, v3, v2
	s_waitcnt vmcnt(0)
	v_add_co_u32_e32 v1, vcc, v6, v1
	v_addc_co_u32_e32 v2, vcc, v7, v2, vcc
	global_load_dwordx2 v[7:8], v[1:2], off glc
	s_waitcnt vmcnt(0)
	global_atomic_cmpswap_x2 v[7:8], v0, v[7:10], s[2:3] offset:24 glc
	s_waitcnt vmcnt(0)
	buffer_wbinvl1_vol
	v_cmp_ne_u64_e32 vcc, v[7:8], v[9:10]
	s_and_saveexec_b64 s[6:7], vcc
	s_cbranch_execz .LBB14_278
; %bb.275:
	s_mov_b64 s[8:9], 0
.LBB14_276:                             ; =>This Inner Loop Header: Depth=1
	s_sleep 1
	global_load_dwordx2 v[1:2], v0, s[2:3] offset:40
	global_load_dwordx2 v[11:12], v0, s[2:3]
	v_mov_b32_e32 v10, v8
	v_mov_b32_e32 v9, v7
	s_waitcnt vmcnt(1)
	v_and_b32_e32 v1, v1, v9
	s_waitcnt vmcnt(0)
	v_mad_u64_u32 v[6:7], s[10:11], v1, 24, v[11:12]
	v_and_b32_e32 v2, v2, v10
	v_mov_b32_e32 v1, v7
	v_mad_u64_u32 v[1:2], s[10:11], v2, 24, v[1:2]
	v_mov_b32_e32 v7, v1
	global_load_dwordx2 v[7:8], v[6:7], off glc
	s_waitcnt vmcnt(0)
	global_atomic_cmpswap_x2 v[7:8], v0, v[7:10], s[2:3] offset:24 glc
	s_waitcnt vmcnt(0)
	buffer_wbinvl1_vol
	v_cmp_eq_u64_e32 vcc, v[7:8], v[9:10]
	s_or_b64 s[8:9], vcc, s[8:9]
	s_andn2_b64 exec, exec, s[8:9]
	s_cbranch_execnz .LBB14_276
; %bb.277:
	s_or_b64 exec, exec, s[8:9]
.LBB14_278:
	s_or_b64 exec, exec, s[6:7]
.LBB14_279:
	s_or_b64 exec, exec, s[4:5]
	v_mov_b32_e32 v6, 0
	global_load_dwordx2 v[9:10], v6, s[2:3] offset:40
	global_load_dwordx4 v[0:3], v6, s[2:3]
	v_readfirstlane_b32 s5, v8
	v_readfirstlane_b32 s4, v7
	s_mov_b64 s[6:7], exec
	s_waitcnt vmcnt(1)
	v_readfirstlane_b32 s8, v9
	v_readfirstlane_b32 s9, v10
	s_and_b64 s[8:9], s[8:9], s[4:5]
	s_mul_i32 s10, s9, 24
	s_mul_hi_u32 s11, s8, 24
	s_mul_i32 s12, s8, 24
	s_add_i32 s10, s11, s10
	v_mov_b32_e32 v7, s10
	s_waitcnt vmcnt(0)
	v_add_co_u32_e32 v8, vcc, s12, v0
	v_addc_co_u32_e32 v9, vcc, v1, v7, vcc
	s_and_saveexec_b64 s[10:11], s[0:1]
	s_cbranch_execz .LBB14_281
; %bb.280:
	v_mov_b32_e32 v11, s7
	v_mov_b32_e32 v10, s6
	;; [unrolled: 1-line block ×4, first 2 shown]
	global_store_dwordx4 v[8:9], v[10:13], off offset:8
.LBB14_281:
	s_or_b64 exec, exec, s[10:11]
	s_lshl_b64 s[6:7], s[8:9], 12
	v_mov_b32_e32 v7, s7
	v_add_co_u32_e32 v2, vcc, s6, v2
	v_addc_co_u32_e32 v3, vcc, v3, v7, vcc
	s_movk_i32 s6, 0xff1f
	v_and_or_b32 v4, v4, s6, 32
	v_add_co_u32_e32 v10, vcc, v2, v31
	s_mov_b32 s8, 0
	v_mov_b32_e32 v7, v6
	v_readfirstlane_b32 s6, v2
	v_readfirstlane_b32 s7, v3
	v_addc_co_u32_e32 v11, vcc, 0, v3, vcc
	s_mov_b32 s9, s8
	s_mov_b32 s10, s8
	;; [unrolled: 1-line block ×3, first 2 shown]
	s_nop 0
	global_store_dwordx4 v31, v[4:7], s[6:7]
	v_mov_b32_e32 v2, s8
	v_mov_b32_e32 v3, s9
	;; [unrolled: 1-line block ×4, first 2 shown]
	global_store_dwordx4 v31, v[2:5], s[6:7] offset:16
	global_store_dwordx4 v31, v[2:5], s[6:7] offset:32
	;; [unrolled: 1-line block ×3, first 2 shown]
	s_and_saveexec_b64 s[6:7], s[0:1]
	s_cbranch_execz .LBB14_289
; %bb.282:
	v_mov_b32_e32 v6, 0
	global_load_dwordx2 v[14:15], v6, s[2:3] offset:32 glc
	global_load_dwordx2 v[2:3], v6, s[2:3] offset:40
	v_mov_b32_e32 v12, s4
	v_mov_b32_e32 v13, s5
	s_waitcnt vmcnt(0)
	v_readfirstlane_b32 s8, v2
	v_readfirstlane_b32 s9, v3
	s_and_b64 s[8:9], s[8:9], s[4:5]
	s_mul_i32 s9, s9, 24
	s_mul_hi_u32 s10, s8, 24
	s_mul_i32 s8, s8, 24
	s_add_i32 s9, s10, s9
	v_mov_b32_e32 v2, s9
	v_add_co_u32_e32 v4, vcc, s8, v0
	v_addc_co_u32_e32 v5, vcc, v1, v2, vcc
	global_store_dwordx2 v[4:5], v[14:15], off
	s_waitcnt vmcnt(0)
	global_atomic_cmpswap_x2 v[2:3], v6, v[12:15], s[2:3] offset:32 glc
	s_waitcnt vmcnt(0)
	v_cmp_ne_u64_e32 vcc, v[2:3], v[14:15]
	s_and_saveexec_b64 s[8:9], vcc
	s_cbranch_execz .LBB14_285
; %bb.283:
	s_mov_b64 s[10:11], 0
.LBB14_284:                             ; =>This Inner Loop Header: Depth=1
	s_sleep 1
	global_store_dwordx2 v[4:5], v[2:3], off
	v_mov_b32_e32 v0, s4
	v_mov_b32_e32 v1, s5
	s_waitcnt vmcnt(0)
	global_atomic_cmpswap_x2 v[0:1], v6, v[0:3], s[2:3] offset:32 glc
	s_waitcnt vmcnt(0)
	v_cmp_eq_u64_e32 vcc, v[0:1], v[2:3]
	v_mov_b32_e32 v3, v1
	s_or_b64 s[10:11], vcc, s[10:11]
	v_mov_b32_e32 v2, v0
	s_andn2_b64 exec, exec, s[10:11]
	s_cbranch_execnz .LBB14_284
.LBB14_285:
	s_or_b64 exec, exec, s[8:9]
	v_mov_b32_e32 v3, 0
	global_load_dwordx2 v[0:1], v3, s[2:3] offset:16
	s_mov_b64 s[8:9], exec
	v_mbcnt_lo_u32_b32 v2, s8, 0
	v_mbcnt_hi_u32_b32 v2, s9, v2
	v_cmp_eq_u32_e32 vcc, 0, v2
	s_and_saveexec_b64 s[10:11], vcc
	s_cbranch_execz .LBB14_287
; %bb.286:
	s_bcnt1_i32_b64 s8, s[8:9]
	v_mov_b32_e32 v2, s8
	s_waitcnt vmcnt(0)
	global_atomic_add_x2 v[0:1], v[2:3], off offset:8
.LBB14_287:
	s_or_b64 exec, exec, s[10:11]
	s_waitcnt vmcnt(0)
	global_load_dwordx2 v[2:3], v[0:1], off offset:16
	s_waitcnt vmcnt(0)
	v_cmp_eq_u64_e32 vcc, 0, v[2:3]
	s_cbranch_vccnz .LBB14_289
; %bb.288:
	global_load_dword v0, v[0:1], off offset:24
	v_mov_b32_e32 v1, 0
	s_waitcnt vmcnt(0)
	v_readfirstlane_b32 s8, v0
	s_and_b32 m0, s8, 0xffffff
	global_store_dwordx2 v[2:3], v[0:1], off
	s_sendmsg sendmsg(MSG_INTERRUPT)
.LBB14_289:
	s_or_b64 exec, exec, s[6:7]
	s_branch .LBB14_293
.LBB14_290:                             ;   in Loop: Header=BB14_293 Depth=1
	s_or_b64 exec, exec, s[6:7]
	v_readfirstlane_b32 s6, v0
	s_cmp_eq_u32 s6, 0
	s_cbranch_scc1 .LBB14_292
; %bb.291:                              ;   in Loop: Header=BB14_293 Depth=1
	s_sleep 1
	s_cbranch_execnz .LBB14_293
	s_branch .LBB14_295
.LBB14_292:
	s_branch .LBB14_295
.LBB14_293:                             ; =>This Inner Loop Header: Depth=1
	v_mov_b32_e32 v0, 1
	s_and_saveexec_b64 s[6:7], s[0:1]
	s_cbranch_execz .LBB14_290
; %bb.294:                              ;   in Loop: Header=BB14_293 Depth=1
	global_load_dword v0, v[8:9], off offset:20 glc
	s_waitcnt vmcnt(0)
	buffer_wbinvl1_vol
	v_and_b32_e32 v0, 1, v0
	s_branch .LBB14_290
.LBB14_295:
	global_load_dwordx2 v[0:1], v[10:11], off
	s_and_saveexec_b64 s[6:7], s[0:1]
	s_cbranch_execz .LBB14_298
; %bb.296:
	v_mov_b32_e32 v8, 0
	global_load_dwordx2 v[2:3], v8, s[2:3] offset:40
	global_load_dwordx2 v[11:12], v8, s[2:3] offset:24 glc
	global_load_dwordx2 v[4:5], v8, s[2:3]
	s_waitcnt vmcnt(2)
	v_readfirstlane_b32 s8, v2
	v_readfirstlane_b32 s9, v3
	s_add_u32 s10, s8, 1
	s_addc_u32 s11, s9, 0
	s_add_u32 s0, s10, s4
	s_addc_u32 s1, s11, s5
	s_cmp_eq_u64 s[0:1], 0
	s_cselect_b32 s1, s11, s1
	s_cselect_b32 s0, s10, s0
	s_and_b64 s[4:5], s[0:1], s[8:9]
	s_mul_i32 s5, s5, 24
	s_mul_hi_u32 s8, s4, 24
	s_mul_i32 s4, s4, 24
	s_add_i32 s5, s8, s5
	v_mov_b32_e32 v2, s5
	s_waitcnt vmcnt(0)
	v_add_co_u32_e32 v6, vcc, s4, v4
	v_addc_co_u32_e32 v7, vcc, v5, v2, vcc
	v_mov_b32_e32 v9, s0
	global_store_dwordx2 v[6:7], v[11:12], off
	v_mov_b32_e32 v10, s1
	s_waitcnt vmcnt(0)
	global_atomic_cmpswap_x2 v[4:5], v8, v[9:12], s[2:3] offset:24 glc
	s_mov_b64 s[4:5], 0
	s_waitcnt vmcnt(0)
	v_cmp_ne_u64_e32 vcc, v[4:5], v[11:12]
	s_and_b64 exec, exec, vcc
	s_cbranch_execz .LBB14_298
.LBB14_297:                             ; =>This Inner Loop Header: Depth=1
	s_sleep 1
	global_store_dwordx2 v[6:7], v[4:5], off
	v_mov_b32_e32 v2, s0
	v_mov_b32_e32 v3, s1
	s_waitcnt vmcnt(0)
	global_atomic_cmpswap_x2 v[2:3], v8, v[2:5], s[2:3] offset:24 glc
	s_waitcnt vmcnt(0)
	v_cmp_eq_u64_e32 vcc, v[2:3], v[4:5]
	v_mov_b32_e32 v5, v3
	s_or_b64 s[4:5], vcc, s[4:5]
	v_mov_b32_e32 v4, v2
	s_andn2_b64 exec, exec, s[4:5]
	s_cbranch_execnz .LBB14_297
.LBB14_298:
	s_or_b64 exec, exec, s[6:7]
.LBB14_299:
	s_getpc_b64 s[4:5]
	s_add_u32 s4, s4, __FUNCTION__._ZN9rocsparseL39csr2csr_compress_fill_warp_start_deviceILj256ELj32ELj2EfEEviPKT2_PjS1_@rel32@lo+4
	s_addc_u32 s5, s5, __FUNCTION__._ZN9rocsparseL39csr2csr_compress_fill_warp_start_deviceILj256ELj32ELj2EfEEviPKT2_PjS1_@rel32@hi+12
	s_cmp_lg_u64 s[4:5], 0
	s_cbranch_scc0 .LBB14_384
; %bb.300:
	s_waitcnt vmcnt(0)
	v_and_b32_e32 v29, 2, v0
	v_mov_b32_e32 v26, 0
	v_and_b32_e32 v2, -3, v0
	v_mov_b32_e32 v3, v1
	s_mov_b64 s[6:7], 40
	v_mov_b32_e32 v8, 2
	v_mov_b32_e32 v9, 1
	s_branch .LBB14_302
.LBB14_301:                             ;   in Loop: Header=BB14_302 Depth=1
	s_or_b64 exec, exec, s[12:13]
	s_sub_u32 s6, s6, s8
	s_subb_u32 s7, s7, s9
	s_add_u32 s4, s4, s8
	s_addc_u32 s5, s5, s9
	s_cmp_lg_u64 s[6:7], 0
	s_cbranch_scc0 .LBB14_385
.LBB14_302:                             ; =>This Loop Header: Depth=1
                                        ;     Child Loop BB14_305 Depth 2
                                        ;     Child Loop BB14_313 Depth 2
	;; [unrolled: 1-line block ×11, first 2 shown]
	v_cmp_lt_u64_e64 s[0:1], s[6:7], 56
	v_cmp_gt_u64_e64 s[10:11], s[6:7], 7
	s_and_b64 s[0:1], s[0:1], exec
	s_cselect_b32 s9, s7, 0
	s_cselect_b32 s8, s6, 56
	s_add_u32 s0, s4, 8
	s_addc_u32 s1, s5, 0
	s_and_b64 vcc, exec, s[10:11]
	s_cbranch_vccnz .LBB14_306
; %bb.303:                              ;   in Loop: Header=BB14_302 Depth=1
	s_cmp_eq_u64 s[6:7], 0
	s_cbranch_scc1 .LBB14_307
; %bb.304:                              ;   in Loop: Header=BB14_302 Depth=1
	v_mov_b32_e32 v4, 0
	s_lshl_b64 s[0:1], s[8:9], 3
	s_mov_b64 s[10:11], 0
	v_mov_b32_e32 v5, 0
	s_mov_b64 s[12:13], s[4:5]
.LBB14_305:                             ;   Parent Loop BB14_302 Depth=1
                                        ; =>  This Inner Loop Header: Depth=2
	global_load_ubyte v6, v26, s[12:13]
	s_waitcnt vmcnt(0)
	v_and_b32_e32 v25, 0xffff, v6
	v_lshlrev_b64 v[6:7], s10, v[25:26]
	s_add_u32 s10, s10, 8
	s_addc_u32 s11, s11, 0
	s_add_u32 s12, s12, 1
	s_addc_u32 s13, s13, 0
	v_or_b32_e32 v4, v6, v4
	s_cmp_lg_u32 s0, s10
	v_or_b32_e32 v5, v7, v5
	s_cbranch_scc1 .LBB14_305
	s_branch .LBB14_308
.LBB14_306:                             ;   in Loop: Header=BB14_302 Depth=1
	s_mov_b32 s14, 0
	s_branch .LBB14_309
.LBB14_307:                             ;   in Loop: Header=BB14_302 Depth=1
	v_mov_b32_e32 v4, 0
	v_mov_b32_e32 v5, 0
.LBB14_308:                             ;   in Loop: Header=BB14_302 Depth=1
	s_mov_b64 s[0:1], s[4:5]
	s_mov_b32 s14, 0
	s_cbranch_execnz .LBB14_310
.LBB14_309:                             ;   in Loop: Header=BB14_302 Depth=1
	global_load_dwordx2 v[4:5], v26, s[4:5]
	s_add_i32 s14, s8, -8
.LBB14_310:                             ;   in Loop: Header=BB14_302 Depth=1
	s_add_u32 s10, s0, 8
	s_addc_u32 s11, s1, 0
	s_cmp_gt_u32 s14, 7
	s_cbranch_scc1 .LBB14_314
; %bb.311:                              ;   in Loop: Header=BB14_302 Depth=1
	s_cmp_eq_u32 s14, 0
	s_cbranch_scc1 .LBB14_315
; %bb.312:                              ;   in Loop: Header=BB14_302 Depth=1
	v_mov_b32_e32 v10, 0
	s_mov_b64 s[10:11], 0
	v_mov_b32_e32 v11, 0
	s_mov_b64 s[12:13], 0
.LBB14_313:                             ;   Parent Loop BB14_302 Depth=1
                                        ; =>  This Inner Loop Header: Depth=2
	s_add_u32 s16, s0, s12
	s_addc_u32 s17, s1, s13
	global_load_ubyte v6, v26, s[16:17]
	s_add_u32 s12, s12, 1
	s_addc_u32 s13, s13, 0
	s_waitcnt vmcnt(0)
	v_and_b32_e32 v25, 0xffff, v6
	v_lshlrev_b64 v[6:7], s10, v[25:26]
	s_add_u32 s10, s10, 8
	s_addc_u32 s11, s11, 0
	v_or_b32_e32 v10, v6, v10
	s_cmp_lg_u32 s14, s12
	v_or_b32_e32 v11, v7, v11
	s_cbranch_scc1 .LBB14_313
	s_branch .LBB14_316
.LBB14_314:                             ;   in Loop: Header=BB14_302 Depth=1
                                        ; implicit-def: $vgpr10_vgpr11
	s_mov_b32 s15, 0
	s_branch .LBB14_317
.LBB14_315:                             ;   in Loop: Header=BB14_302 Depth=1
	v_mov_b32_e32 v10, 0
	v_mov_b32_e32 v11, 0
.LBB14_316:                             ;   in Loop: Header=BB14_302 Depth=1
	s_mov_b64 s[10:11], s[0:1]
	s_mov_b32 s15, 0
	s_cbranch_execnz .LBB14_318
.LBB14_317:                             ;   in Loop: Header=BB14_302 Depth=1
	global_load_dwordx2 v[10:11], v26, s[0:1]
	s_add_i32 s15, s14, -8
.LBB14_318:                             ;   in Loop: Header=BB14_302 Depth=1
	s_add_u32 s0, s10, 8
	s_addc_u32 s1, s11, 0
	s_cmp_gt_u32 s15, 7
	s_cbranch_scc1 .LBB14_322
; %bb.319:                              ;   in Loop: Header=BB14_302 Depth=1
	s_cmp_eq_u32 s15, 0
	s_cbranch_scc1 .LBB14_323
; %bb.320:                              ;   in Loop: Header=BB14_302 Depth=1
	v_mov_b32_e32 v12, 0
	s_mov_b64 s[0:1], 0
	v_mov_b32_e32 v13, 0
	s_mov_b64 s[12:13], 0
.LBB14_321:                             ;   Parent Loop BB14_302 Depth=1
                                        ; =>  This Inner Loop Header: Depth=2
	s_add_u32 s16, s10, s12
	s_addc_u32 s17, s11, s13
	global_load_ubyte v6, v26, s[16:17]
	s_add_u32 s12, s12, 1
	s_addc_u32 s13, s13, 0
	s_waitcnt vmcnt(0)
	v_and_b32_e32 v25, 0xffff, v6
	v_lshlrev_b64 v[6:7], s0, v[25:26]
	s_add_u32 s0, s0, 8
	s_addc_u32 s1, s1, 0
	v_or_b32_e32 v12, v6, v12
	s_cmp_lg_u32 s15, s12
	v_or_b32_e32 v13, v7, v13
	s_cbranch_scc1 .LBB14_321
	s_branch .LBB14_324
.LBB14_322:                             ;   in Loop: Header=BB14_302 Depth=1
	s_mov_b32 s14, 0
	s_branch .LBB14_325
.LBB14_323:                             ;   in Loop: Header=BB14_302 Depth=1
	v_mov_b32_e32 v12, 0
	v_mov_b32_e32 v13, 0
.LBB14_324:                             ;   in Loop: Header=BB14_302 Depth=1
	s_mov_b64 s[0:1], s[10:11]
	s_mov_b32 s14, 0
	s_cbranch_execnz .LBB14_326
.LBB14_325:                             ;   in Loop: Header=BB14_302 Depth=1
	global_load_dwordx2 v[12:13], v26, s[10:11]
	s_add_i32 s14, s15, -8
.LBB14_326:                             ;   in Loop: Header=BB14_302 Depth=1
	s_add_u32 s10, s0, 8
	s_addc_u32 s11, s1, 0
	s_cmp_gt_u32 s14, 7
	s_cbranch_scc1 .LBB14_330
; %bb.327:                              ;   in Loop: Header=BB14_302 Depth=1
	s_cmp_eq_u32 s14, 0
	s_cbranch_scc1 .LBB14_331
; %bb.328:                              ;   in Loop: Header=BB14_302 Depth=1
	v_mov_b32_e32 v14, 0
	s_mov_b64 s[10:11], 0
	v_mov_b32_e32 v15, 0
	s_mov_b64 s[12:13], 0
.LBB14_329:                             ;   Parent Loop BB14_302 Depth=1
                                        ; =>  This Inner Loop Header: Depth=2
	s_add_u32 s16, s0, s12
	s_addc_u32 s17, s1, s13
	global_load_ubyte v6, v26, s[16:17]
	s_add_u32 s12, s12, 1
	s_addc_u32 s13, s13, 0
	s_waitcnt vmcnt(0)
	v_and_b32_e32 v25, 0xffff, v6
	v_lshlrev_b64 v[6:7], s10, v[25:26]
	s_add_u32 s10, s10, 8
	s_addc_u32 s11, s11, 0
	v_or_b32_e32 v14, v6, v14
	s_cmp_lg_u32 s14, s12
	v_or_b32_e32 v15, v7, v15
	s_cbranch_scc1 .LBB14_329
	s_branch .LBB14_332
.LBB14_330:                             ;   in Loop: Header=BB14_302 Depth=1
                                        ; implicit-def: $vgpr14_vgpr15
	s_mov_b32 s15, 0
	s_branch .LBB14_333
.LBB14_331:                             ;   in Loop: Header=BB14_302 Depth=1
	v_mov_b32_e32 v14, 0
	v_mov_b32_e32 v15, 0
.LBB14_332:                             ;   in Loop: Header=BB14_302 Depth=1
	s_mov_b64 s[10:11], s[0:1]
	s_mov_b32 s15, 0
	s_cbranch_execnz .LBB14_334
.LBB14_333:                             ;   in Loop: Header=BB14_302 Depth=1
	global_load_dwordx2 v[14:15], v26, s[0:1]
	s_add_i32 s15, s14, -8
.LBB14_334:                             ;   in Loop: Header=BB14_302 Depth=1
	s_add_u32 s0, s10, 8
	s_addc_u32 s1, s11, 0
	s_cmp_gt_u32 s15, 7
	s_cbranch_scc1 .LBB14_338
; %bb.335:                              ;   in Loop: Header=BB14_302 Depth=1
	s_cmp_eq_u32 s15, 0
	s_cbranch_scc1 .LBB14_339
; %bb.336:                              ;   in Loop: Header=BB14_302 Depth=1
	v_mov_b32_e32 v16, 0
	s_mov_b64 s[0:1], 0
	v_mov_b32_e32 v17, 0
	s_mov_b64 s[12:13], 0
.LBB14_337:                             ;   Parent Loop BB14_302 Depth=1
                                        ; =>  This Inner Loop Header: Depth=2
	s_add_u32 s16, s10, s12
	s_addc_u32 s17, s11, s13
	global_load_ubyte v6, v26, s[16:17]
	s_add_u32 s12, s12, 1
	s_addc_u32 s13, s13, 0
	s_waitcnt vmcnt(0)
	v_and_b32_e32 v25, 0xffff, v6
	v_lshlrev_b64 v[6:7], s0, v[25:26]
	s_add_u32 s0, s0, 8
	s_addc_u32 s1, s1, 0
	v_or_b32_e32 v16, v6, v16
	s_cmp_lg_u32 s15, s12
	v_or_b32_e32 v17, v7, v17
	s_cbranch_scc1 .LBB14_337
	s_branch .LBB14_340
.LBB14_338:                             ;   in Loop: Header=BB14_302 Depth=1
	s_mov_b32 s14, 0
	s_branch .LBB14_341
.LBB14_339:                             ;   in Loop: Header=BB14_302 Depth=1
	v_mov_b32_e32 v16, 0
	v_mov_b32_e32 v17, 0
.LBB14_340:                             ;   in Loop: Header=BB14_302 Depth=1
	s_mov_b64 s[0:1], s[10:11]
	s_mov_b32 s14, 0
	s_cbranch_execnz .LBB14_342
.LBB14_341:                             ;   in Loop: Header=BB14_302 Depth=1
	global_load_dwordx2 v[16:17], v26, s[10:11]
	s_add_i32 s14, s15, -8
.LBB14_342:                             ;   in Loop: Header=BB14_302 Depth=1
	s_add_u32 s10, s0, 8
	s_addc_u32 s11, s1, 0
	s_cmp_gt_u32 s14, 7
	s_cbranch_scc1 .LBB14_346
; %bb.343:                              ;   in Loop: Header=BB14_302 Depth=1
	s_cmp_eq_u32 s14, 0
	s_cbranch_scc1 .LBB14_347
; %bb.344:                              ;   in Loop: Header=BB14_302 Depth=1
	v_mov_b32_e32 v18, 0
	s_mov_b64 s[10:11], 0
	v_mov_b32_e32 v19, 0
	s_mov_b64 s[12:13], 0
.LBB14_345:                             ;   Parent Loop BB14_302 Depth=1
                                        ; =>  This Inner Loop Header: Depth=2
	s_add_u32 s16, s0, s12
	s_addc_u32 s17, s1, s13
	global_load_ubyte v6, v26, s[16:17]
	s_add_u32 s12, s12, 1
	s_addc_u32 s13, s13, 0
	s_waitcnt vmcnt(0)
	v_and_b32_e32 v25, 0xffff, v6
	v_lshlrev_b64 v[6:7], s10, v[25:26]
	s_add_u32 s10, s10, 8
	s_addc_u32 s11, s11, 0
	v_or_b32_e32 v18, v6, v18
	s_cmp_lg_u32 s14, s12
	v_or_b32_e32 v19, v7, v19
	s_cbranch_scc1 .LBB14_345
	s_branch .LBB14_348
.LBB14_346:                             ;   in Loop: Header=BB14_302 Depth=1
                                        ; implicit-def: $vgpr18_vgpr19
	s_mov_b32 s15, 0
	s_branch .LBB14_349
.LBB14_347:                             ;   in Loop: Header=BB14_302 Depth=1
	v_mov_b32_e32 v18, 0
	v_mov_b32_e32 v19, 0
.LBB14_348:                             ;   in Loop: Header=BB14_302 Depth=1
	s_mov_b64 s[10:11], s[0:1]
	s_mov_b32 s15, 0
	s_cbranch_execnz .LBB14_350
.LBB14_349:                             ;   in Loop: Header=BB14_302 Depth=1
	global_load_dwordx2 v[18:19], v26, s[0:1]
	s_add_i32 s15, s14, -8
.LBB14_350:                             ;   in Loop: Header=BB14_302 Depth=1
	s_cmp_gt_u32 s15, 7
	s_cbranch_scc1 .LBB14_354
; %bb.351:                              ;   in Loop: Header=BB14_302 Depth=1
	s_cmp_eq_u32 s15, 0
	s_cbranch_scc1 .LBB14_355
; %bb.352:                              ;   in Loop: Header=BB14_302 Depth=1
	v_mov_b32_e32 v20, 0
	s_mov_b64 s[0:1], 0
	v_mov_b32_e32 v21, 0
	s_mov_b64 s[12:13], s[10:11]
.LBB14_353:                             ;   Parent Loop BB14_302 Depth=1
                                        ; =>  This Inner Loop Header: Depth=2
	global_load_ubyte v6, v26, s[12:13]
	s_add_i32 s15, s15, -1
	s_waitcnt vmcnt(0)
	v_and_b32_e32 v25, 0xffff, v6
	v_lshlrev_b64 v[6:7], s0, v[25:26]
	s_add_u32 s0, s0, 8
	s_addc_u32 s1, s1, 0
	s_add_u32 s12, s12, 1
	s_addc_u32 s13, s13, 0
	v_or_b32_e32 v20, v6, v20
	s_cmp_lg_u32 s15, 0
	v_or_b32_e32 v21, v7, v21
	s_cbranch_scc1 .LBB14_353
	s_branch .LBB14_356
.LBB14_354:                             ;   in Loop: Header=BB14_302 Depth=1
	s_branch .LBB14_357
.LBB14_355:                             ;   in Loop: Header=BB14_302 Depth=1
	v_mov_b32_e32 v20, 0
	v_mov_b32_e32 v21, 0
.LBB14_356:                             ;   in Loop: Header=BB14_302 Depth=1
	s_cbranch_execnz .LBB14_358
.LBB14_357:                             ;   in Loop: Header=BB14_302 Depth=1
	global_load_dwordx2 v[20:21], v26, s[10:11]
.LBB14_358:                             ;   in Loop: Header=BB14_302 Depth=1
	v_readfirstlane_b32 s0, v32
	v_mov_b32_e32 v6, 0
	v_mov_b32_e32 v7, 0
	v_cmp_eq_u32_e64 s[0:1], s0, v32
	s_and_saveexec_b64 s[10:11], s[0:1]
	s_cbranch_execz .LBB14_364
; %bb.359:                              ;   in Loop: Header=BB14_302 Depth=1
	global_load_dwordx2 v[24:25], v26, s[2:3] offset:24 glc
	s_waitcnt vmcnt(0)
	buffer_wbinvl1_vol
	global_load_dwordx2 v[6:7], v26, s[2:3] offset:40
	global_load_dwordx2 v[22:23], v26, s[2:3]
	s_waitcnt vmcnt(1)
	v_and_b32_e32 v6, v6, v24
	v_and_b32_e32 v7, v7, v25
	v_mul_lo_u32 v7, v7, 24
	v_mul_hi_u32 v27, v6, 24
	v_mul_lo_u32 v6, v6, 24
	v_add_u32_e32 v7, v27, v7
	s_waitcnt vmcnt(0)
	v_add_co_u32_e32 v6, vcc, v22, v6
	v_addc_co_u32_e32 v7, vcc, v23, v7, vcc
	global_load_dwordx2 v[22:23], v[6:7], off glc
	s_waitcnt vmcnt(0)
	global_atomic_cmpswap_x2 v[6:7], v26, v[22:25], s[2:3] offset:24 glc
	s_waitcnt vmcnt(0)
	buffer_wbinvl1_vol
	v_cmp_ne_u64_e32 vcc, v[6:7], v[24:25]
	s_and_saveexec_b64 s[12:13], vcc
	s_cbranch_execz .LBB14_363
; %bb.360:                              ;   in Loop: Header=BB14_302 Depth=1
	s_mov_b64 s[14:15], 0
.LBB14_361:                             ;   Parent Loop BB14_302 Depth=1
                                        ; =>  This Inner Loop Header: Depth=2
	s_sleep 1
	global_load_dwordx2 v[22:23], v26, s[2:3] offset:40
	global_load_dwordx2 v[27:28], v26, s[2:3]
	v_mov_b32_e32 v25, v7
	v_mov_b32_e32 v24, v6
	s_waitcnt vmcnt(1)
	v_and_b32_e32 v6, v22, v24
	s_waitcnt vmcnt(0)
	v_mad_u64_u32 v[6:7], s[16:17], v6, 24, v[27:28]
	v_and_b32_e32 v22, v23, v25
	v_mad_u64_u32 v[22:23], s[16:17], v22, 24, v[7:8]
	v_mov_b32_e32 v7, v22
	global_load_dwordx2 v[22:23], v[6:7], off glc
	s_waitcnt vmcnt(0)
	global_atomic_cmpswap_x2 v[6:7], v26, v[22:25], s[2:3] offset:24 glc
	s_waitcnt vmcnt(0)
	buffer_wbinvl1_vol
	v_cmp_eq_u64_e32 vcc, v[6:7], v[24:25]
	s_or_b64 s[14:15], vcc, s[14:15]
	s_andn2_b64 exec, exec, s[14:15]
	s_cbranch_execnz .LBB14_361
; %bb.362:                              ;   in Loop: Header=BB14_302 Depth=1
	s_or_b64 exec, exec, s[14:15]
.LBB14_363:                             ;   in Loop: Header=BB14_302 Depth=1
	s_or_b64 exec, exec, s[12:13]
.LBB14_364:                             ;   in Loop: Header=BB14_302 Depth=1
	s_or_b64 exec, exec, s[10:11]
	global_load_dwordx2 v[27:28], v26, s[2:3] offset:40
	global_load_dwordx4 v[22:25], v26, s[2:3]
	v_readfirstlane_b32 s11, v7
	v_readfirstlane_b32 s10, v6
	s_mov_b64 s[12:13], exec
	s_waitcnt vmcnt(1)
	v_readfirstlane_b32 s14, v27
	v_readfirstlane_b32 s15, v28
	s_and_b64 s[14:15], s[14:15], s[10:11]
	s_mul_i32 s16, s15, 24
	s_mul_hi_u32 s17, s14, 24
	s_mul_i32 s18, s14, 24
	s_add_i32 s16, s17, s16
	v_mov_b32_e32 v6, s16
	s_waitcnt vmcnt(0)
	v_add_co_u32_e32 v27, vcc, s18, v22
	v_addc_co_u32_e32 v28, vcc, v23, v6, vcc
	s_and_saveexec_b64 s[16:17], s[0:1]
	s_cbranch_execz .LBB14_366
; %bb.365:                              ;   in Loop: Header=BB14_302 Depth=1
	v_mov_b32_e32 v6, s12
	v_mov_b32_e32 v7, s13
	global_store_dwordx4 v[27:28], v[6:9], off offset:8
.LBB14_366:                             ;   in Loop: Header=BB14_302 Depth=1
	s_or_b64 exec, exec, s[16:17]
	s_lshl_b64 s[12:13], s[14:15], 12
	v_mov_b32_e32 v6, s13
	v_add_co_u32_e32 v24, vcc, s12, v24
	v_addc_co_u32_e32 v30, vcc, v25, v6, vcc
	v_cmp_lt_u64_e64 vcc, s[6:7], 57
	s_lshl_b32 s12, s8, 2
	v_cndmask_b32_e32 v6, 0, v29, vcc
	s_add_i32 s12, s12, 28
	v_and_b32_e32 v2, 0xffffff1f, v2
	s_and_b32 s12, s12, 0x1e0
	v_or_b32_e32 v2, v2, v6
	v_or_b32_e32 v2, s12, v2
	v_readfirstlane_b32 s12, v24
	v_readfirstlane_b32 s13, v30
	s_nop 4
	global_store_dwordx4 v31, v[2:5], s[12:13]
	global_store_dwordx4 v31, v[10:13], s[12:13] offset:16
	global_store_dwordx4 v31, v[14:17], s[12:13] offset:32
	;; [unrolled: 1-line block ×3, first 2 shown]
	s_and_saveexec_b64 s[12:13], s[0:1]
	s_cbranch_execz .LBB14_374
; %bb.367:                              ;   in Loop: Header=BB14_302 Depth=1
	global_load_dwordx2 v[12:13], v26, s[2:3] offset:32 glc
	global_load_dwordx2 v[2:3], v26, s[2:3] offset:40
	v_mov_b32_e32 v10, s10
	v_mov_b32_e32 v11, s11
	s_waitcnt vmcnt(0)
	v_readfirstlane_b32 s14, v2
	v_readfirstlane_b32 s15, v3
	s_and_b64 s[14:15], s[14:15], s[10:11]
	s_mul_i32 s15, s15, 24
	s_mul_hi_u32 s16, s14, 24
	s_mul_i32 s14, s14, 24
	s_add_i32 s15, s16, s15
	v_mov_b32_e32 v2, s15
	v_add_co_u32_e32 v6, vcc, s14, v22
	v_addc_co_u32_e32 v7, vcc, v23, v2, vcc
	global_store_dwordx2 v[6:7], v[12:13], off
	s_waitcnt vmcnt(0)
	global_atomic_cmpswap_x2 v[4:5], v26, v[10:13], s[2:3] offset:32 glc
	s_waitcnt vmcnt(0)
	v_cmp_ne_u64_e32 vcc, v[4:5], v[12:13]
	s_and_saveexec_b64 s[14:15], vcc
	s_cbranch_execz .LBB14_370
; %bb.368:                              ;   in Loop: Header=BB14_302 Depth=1
	s_mov_b64 s[16:17], 0
.LBB14_369:                             ;   Parent Loop BB14_302 Depth=1
                                        ; =>  This Inner Loop Header: Depth=2
	s_sleep 1
	global_store_dwordx2 v[6:7], v[4:5], off
	v_mov_b32_e32 v2, s10
	v_mov_b32_e32 v3, s11
	s_waitcnt vmcnt(0)
	global_atomic_cmpswap_x2 v[2:3], v26, v[2:5], s[2:3] offset:32 glc
	s_waitcnt vmcnt(0)
	v_cmp_eq_u64_e32 vcc, v[2:3], v[4:5]
	v_mov_b32_e32 v5, v3
	s_or_b64 s[16:17], vcc, s[16:17]
	v_mov_b32_e32 v4, v2
	s_andn2_b64 exec, exec, s[16:17]
	s_cbranch_execnz .LBB14_369
.LBB14_370:                             ;   in Loop: Header=BB14_302 Depth=1
	s_or_b64 exec, exec, s[14:15]
	global_load_dwordx2 v[2:3], v26, s[2:3] offset:16
	s_mov_b64 s[16:17], exec
	v_mbcnt_lo_u32_b32 v4, s16, 0
	v_mbcnt_hi_u32_b32 v4, s17, v4
	v_cmp_eq_u32_e32 vcc, 0, v4
	s_and_saveexec_b64 s[14:15], vcc
	s_cbranch_execz .LBB14_372
; %bb.371:                              ;   in Loop: Header=BB14_302 Depth=1
	s_bcnt1_i32_b64 s16, s[16:17]
	v_mov_b32_e32 v25, s16
	s_waitcnt vmcnt(0)
	global_atomic_add_x2 v[2:3], v[25:26], off offset:8
.LBB14_372:                             ;   in Loop: Header=BB14_302 Depth=1
	s_or_b64 exec, exec, s[14:15]
	s_waitcnt vmcnt(0)
	global_load_dwordx2 v[4:5], v[2:3], off offset:16
	s_waitcnt vmcnt(0)
	v_cmp_eq_u64_e32 vcc, 0, v[4:5]
	s_cbranch_vccnz .LBB14_374
; %bb.373:                              ;   in Loop: Header=BB14_302 Depth=1
	global_load_dword v25, v[2:3], off offset:24
	s_waitcnt vmcnt(0)
	v_readfirstlane_b32 s14, v25
	s_and_b32 m0, s14, 0xffffff
	global_store_dwordx2 v[4:5], v[25:26], off
	s_sendmsg sendmsg(MSG_INTERRUPT)
.LBB14_374:                             ;   in Loop: Header=BB14_302 Depth=1
	s_or_b64 exec, exec, s[12:13]
	v_add_co_u32_e32 v2, vcc, v24, v31
	v_addc_co_u32_e32 v3, vcc, 0, v30, vcc
	s_branch .LBB14_378
.LBB14_375:                             ;   in Loop: Header=BB14_378 Depth=2
	s_or_b64 exec, exec, s[12:13]
	v_readfirstlane_b32 s12, v4
	s_cmp_eq_u32 s12, 0
	s_cbranch_scc1 .LBB14_377
; %bb.376:                              ;   in Loop: Header=BB14_378 Depth=2
	s_sleep 1
	s_cbranch_execnz .LBB14_378
	s_branch .LBB14_380
.LBB14_377:                             ;   in Loop: Header=BB14_302 Depth=1
	s_branch .LBB14_380
.LBB14_378:                             ;   Parent Loop BB14_302 Depth=1
                                        ; =>  This Inner Loop Header: Depth=2
	v_mov_b32_e32 v4, 1
	s_and_saveexec_b64 s[12:13], s[0:1]
	s_cbranch_execz .LBB14_375
; %bb.379:                              ;   in Loop: Header=BB14_378 Depth=2
	global_load_dword v4, v[27:28], off offset:20 glc
	s_waitcnt vmcnt(0)
	buffer_wbinvl1_vol
	v_and_b32_e32 v4, 1, v4
	s_branch .LBB14_375
.LBB14_380:                             ;   in Loop: Header=BB14_302 Depth=1
	global_load_dwordx2 v[2:3], v[2:3], off
	s_and_saveexec_b64 s[12:13], s[0:1]
	s_cbranch_execz .LBB14_301
; %bb.381:                              ;   in Loop: Header=BB14_302 Depth=1
	global_load_dwordx2 v[4:5], v26, s[2:3] offset:40
	global_load_dwordx2 v[14:15], v26, s[2:3] offset:24 glc
	global_load_dwordx2 v[6:7], v26, s[2:3]
	s_waitcnt vmcnt(2)
	v_readfirstlane_b32 s14, v4
	v_readfirstlane_b32 s15, v5
	s_add_u32 s16, s14, 1
	s_addc_u32 s17, s15, 0
	s_add_u32 s0, s16, s10
	s_addc_u32 s1, s17, s11
	s_cmp_eq_u64 s[0:1], 0
	s_cselect_b32 s1, s17, s1
	s_cselect_b32 s0, s16, s0
	s_and_b64 s[10:11], s[0:1], s[14:15]
	s_mul_i32 s11, s11, 24
	s_mul_hi_u32 s14, s10, 24
	s_mul_i32 s10, s10, 24
	s_add_i32 s11, s14, s11
	v_mov_b32_e32 v4, s11
	s_waitcnt vmcnt(0)
	v_add_co_u32_e32 v10, vcc, s10, v6
	v_addc_co_u32_e32 v11, vcc, v7, v4, vcc
	v_mov_b32_e32 v12, s0
	global_store_dwordx2 v[10:11], v[14:15], off
	v_mov_b32_e32 v13, s1
	s_waitcnt vmcnt(0)
	global_atomic_cmpswap_x2 v[6:7], v26, v[12:15], s[2:3] offset:24 glc
	s_waitcnt vmcnt(0)
	v_cmp_ne_u64_e32 vcc, v[6:7], v[14:15]
	s_and_b64 exec, exec, vcc
	s_cbranch_execz .LBB14_301
; %bb.382:                              ;   in Loop: Header=BB14_302 Depth=1
	s_mov_b64 s[10:11], 0
.LBB14_383:                             ;   Parent Loop BB14_302 Depth=1
                                        ; =>  This Inner Loop Header: Depth=2
	s_sleep 1
	global_store_dwordx2 v[10:11], v[6:7], off
	v_mov_b32_e32 v4, s0
	v_mov_b32_e32 v5, s1
	s_waitcnt vmcnt(0)
	global_atomic_cmpswap_x2 v[4:5], v26, v[4:7], s[2:3] offset:24 glc
	s_waitcnt vmcnt(0)
	v_cmp_eq_u64_e32 vcc, v[4:5], v[6:7]
	v_mov_b32_e32 v7, v5
	s_or_b64 s[10:11], vcc, s[10:11]
	v_mov_b32_e32 v6, v4
	s_andn2_b64 exec, exec, s[10:11]
	s_cbranch_execnz .LBB14_383
	s_branch .LBB14_301
.LBB14_384:
	s_mov_b64 s[0:1], -1
                                        ; implicit-def: $vgpr2_vgpr3
	s_branch .LBB14_386
.LBB14_385:
	s_mov_b64 s[0:1], 0
.LBB14_386:
	s_and_b64 vcc, exec, s[0:1]
	s_cbranch_vccz .LBB14_413
; %bb.387:
	v_readfirstlane_b32 s0, v32
	v_mov_b32_e32 v8, 0
	v_mov_b32_e32 v9, 0
	v_cmp_eq_u32_e64 s[0:1], s0, v32
	s_and_saveexec_b64 s[4:5], s[0:1]
	s_cbranch_execz .LBB14_393
; %bb.388:
	s_waitcnt vmcnt(0)
	v_mov_b32_e32 v2, 0
	global_load_dwordx2 v[5:6], v2, s[2:3] offset:24 glc
	s_waitcnt vmcnt(0)
	buffer_wbinvl1_vol
	global_load_dwordx2 v[3:4], v2, s[2:3] offset:40
	global_load_dwordx2 v[7:8], v2, s[2:3]
	s_waitcnt vmcnt(1)
	v_and_b32_e32 v3, v3, v5
	v_and_b32_e32 v4, v4, v6
	v_mul_lo_u32 v4, v4, 24
	v_mul_hi_u32 v9, v3, 24
	v_mul_lo_u32 v3, v3, 24
	v_add_u32_e32 v4, v9, v4
	s_waitcnt vmcnt(0)
	v_add_co_u32_e32 v3, vcc, v7, v3
	v_addc_co_u32_e32 v4, vcc, v8, v4, vcc
	global_load_dwordx2 v[3:4], v[3:4], off glc
	s_waitcnt vmcnt(0)
	global_atomic_cmpswap_x2 v[8:9], v2, v[3:6], s[2:3] offset:24 glc
	s_waitcnt vmcnt(0)
	buffer_wbinvl1_vol
	v_cmp_ne_u64_e32 vcc, v[8:9], v[5:6]
	s_and_saveexec_b64 s[6:7], vcc
	s_cbranch_execz .LBB14_392
; %bb.389:
	s_mov_b64 s[8:9], 0
.LBB14_390:                             ; =>This Inner Loop Header: Depth=1
	s_sleep 1
	global_load_dwordx2 v[3:4], v2, s[2:3] offset:40
	global_load_dwordx2 v[10:11], v2, s[2:3]
	v_mov_b32_e32 v5, v8
	v_mov_b32_e32 v6, v9
	s_waitcnt vmcnt(1)
	v_and_b32_e32 v3, v3, v5
	s_waitcnt vmcnt(0)
	v_mad_u64_u32 v[7:8], s[10:11], v3, 24, v[10:11]
	v_and_b32_e32 v4, v4, v6
	v_mov_b32_e32 v3, v8
	v_mad_u64_u32 v[3:4], s[10:11], v4, 24, v[3:4]
	v_mov_b32_e32 v8, v3
	global_load_dwordx2 v[3:4], v[7:8], off glc
	s_waitcnt vmcnt(0)
	global_atomic_cmpswap_x2 v[8:9], v2, v[3:6], s[2:3] offset:24 glc
	s_waitcnt vmcnt(0)
	buffer_wbinvl1_vol
	v_cmp_eq_u64_e32 vcc, v[8:9], v[5:6]
	s_or_b64 s[8:9], vcc, s[8:9]
	s_andn2_b64 exec, exec, s[8:9]
	s_cbranch_execnz .LBB14_390
; %bb.391:
	s_or_b64 exec, exec, s[8:9]
.LBB14_392:
	s_or_b64 exec, exec, s[6:7]
.LBB14_393:
	s_or_b64 exec, exec, s[4:5]
	s_waitcnt vmcnt(0)
	v_mov_b32_e32 v2, 0
	global_load_dwordx2 v[10:11], v2, s[2:3] offset:40
	global_load_dwordx4 v[4:7], v2, s[2:3]
	v_readfirstlane_b32 s5, v9
	v_readfirstlane_b32 s4, v8
	s_mov_b64 s[6:7], exec
	s_waitcnt vmcnt(1)
	v_readfirstlane_b32 s8, v10
	v_readfirstlane_b32 s9, v11
	s_and_b64 s[8:9], s[8:9], s[4:5]
	s_mul_i32 s10, s9, 24
	s_mul_hi_u32 s11, s8, 24
	s_mul_i32 s12, s8, 24
	s_add_i32 s10, s11, s10
	v_mov_b32_e32 v3, s10
	s_waitcnt vmcnt(0)
	v_add_co_u32_e32 v8, vcc, s12, v4
	v_addc_co_u32_e32 v9, vcc, v5, v3, vcc
	s_and_saveexec_b64 s[10:11], s[0:1]
	s_cbranch_execz .LBB14_395
; %bb.394:
	v_mov_b32_e32 v11, s7
	v_mov_b32_e32 v10, s6
	;; [unrolled: 1-line block ×4, first 2 shown]
	global_store_dwordx4 v[8:9], v[10:13], off offset:8
.LBB14_395:
	s_or_b64 exec, exec, s[10:11]
	s_lshl_b64 s[6:7], s[8:9], 12
	v_mov_b32_e32 v3, s7
	v_add_co_u32_e32 v10, vcc, s6, v6
	v_addc_co_u32_e32 v11, vcc, v7, v3, vcc
	s_movk_i32 s6, 0xff1f
	v_and_or_b32 v0, v0, s6, 32
	s_mov_b32 s8, 0
	v_mov_b32_e32 v3, v2
	v_readfirstlane_b32 s6, v10
	v_readfirstlane_b32 s7, v11
	v_add_co_u32_e32 v6, vcc, v10, v31
	s_mov_b32 s9, s8
	s_mov_b32 s10, s8
	;; [unrolled: 1-line block ×3, first 2 shown]
	s_nop 0
	global_store_dwordx4 v31, v[0:3], s[6:7]
	v_addc_co_u32_e32 v7, vcc, 0, v11, vcc
	v_mov_b32_e32 v0, s8
	v_mov_b32_e32 v1, s9
	;; [unrolled: 1-line block ×4, first 2 shown]
	global_store_dwordx4 v31, v[0:3], s[6:7] offset:16
	global_store_dwordx4 v31, v[0:3], s[6:7] offset:32
	;; [unrolled: 1-line block ×3, first 2 shown]
	s_and_saveexec_b64 s[6:7], s[0:1]
	s_cbranch_execz .LBB14_403
; %bb.396:
	v_mov_b32_e32 v10, 0
	global_load_dwordx2 v[13:14], v10, s[2:3] offset:32 glc
	global_load_dwordx2 v[0:1], v10, s[2:3] offset:40
	v_mov_b32_e32 v11, s4
	v_mov_b32_e32 v12, s5
	s_waitcnt vmcnt(0)
	v_readfirstlane_b32 s8, v0
	v_readfirstlane_b32 s9, v1
	s_and_b64 s[8:9], s[8:9], s[4:5]
	s_mul_i32 s9, s9, 24
	s_mul_hi_u32 s10, s8, 24
	s_mul_i32 s8, s8, 24
	s_add_i32 s9, s10, s9
	v_mov_b32_e32 v0, s9
	v_add_co_u32_e32 v4, vcc, s8, v4
	v_addc_co_u32_e32 v5, vcc, v5, v0, vcc
	global_store_dwordx2 v[4:5], v[13:14], off
	s_waitcnt vmcnt(0)
	global_atomic_cmpswap_x2 v[2:3], v10, v[11:14], s[2:3] offset:32 glc
	s_waitcnt vmcnt(0)
	v_cmp_ne_u64_e32 vcc, v[2:3], v[13:14]
	s_and_saveexec_b64 s[8:9], vcc
	s_cbranch_execz .LBB14_399
; %bb.397:
	s_mov_b64 s[10:11], 0
.LBB14_398:                             ; =>This Inner Loop Header: Depth=1
	s_sleep 1
	global_store_dwordx2 v[4:5], v[2:3], off
	v_mov_b32_e32 v0, s4
	v_mov_b32_e32 v1, s5
	s_waitcnt vmcnt(0)
	global_atomic_cmpswap_x2 v[0:1], v10, v[0:3], s[2:3] offset:32 glc
	s_waitcnt vmcnt(0)
	v_cmp_eq_u64_e32 vcc, v[0:1], v[2:3]
	v_mov_b32_e32 v3, v1
	s_or_b64 s[10:11], vcc, s[10:11]
	v_mov_b32_e32 v2, v0
	s_andn2_b64 exec, exec, s[10:11]
	s_cbranch_execnz .LBB14_398
.LBB14_399:
	s_or_b64 exec, exec, s[8:9]
	v_mov_b32_e32 v3, 0
	global_load_dwordx2 v[0:1], v3, s[2:3] offset:16
	s_mov_b64 s[8:9], exec
	v_mbcnt_lo_u32_b32 v2, s8, 0
	v_mbcnt_hi_u32_b32 v2, s9, v2
	v_cmp_eq_u32_e32 vcc, 0, v2
	s_and_saveexec_b64 s[10:11], vcc
	s_cbranch_execz .LBB14_401
; %bb.400:
	s_bcnt1_i32_b64 s8, s[8:9]
	v_mov_b32_e32 v2, s8
	s_waitcnt vmcnt(0)
	global_atomic_add_x2 v[0:1], v[2:3], off offset:8
.LBB14_401:
	s_or_b64 exec, exec, s[10:11]
	s_waitcnt vmcnt(0)
	global_load_dwordx2 v[2:3], v[0:1], off offset:16
	s_waitcnt vmcnt(0)
	v_cmp_eq_u64_e32 vcc, 0, v[2:3]
	s_cbranch_vccnz .LBB14_403
; %bb.402:
	global_load_dword v0, v[0:1], off offset:24
	v_mov_b32_e32 v1, 0
	s_waitcnt vmcnt(0)
	v_readfirstlane_b32 s8, v0
	s_and_b32 m0, s8, 0xffffff
	global_store_dwordx2 v[2:3], v[0:1], off
	s_sendmsg sendmsg(MSG_INTERRUPT)
.LBB14_403:
	s_or_b64 exec, exec, s[6:7]
	s_branch .LBB14_407
.LBB14_404:                             ;   in Loop: Header=BB14_407 Depth=1
	s_or_b64 exec, exec, s[6:7]
	v_readfirstlane_b32 s6, v0
	s_cmp_eq_u32 s6, 0
	s_cbranch_scc1 .LBB14_406
; %bb.405:                              ;   in Loop: Header=BB14_407 Depth=1
	s_sleep 1
	s_cbranch_execnz .LBB14_407
	s_branch .LBB14_409
.LBB14_406:
	s_branch .LBB14_409
.LBB14_407:                             ; =>This Inner Loop Header: Depth=1
	v_mov_b32_e32 v0, 1
	s_and_saveexec_b64 s[6:7], s[0:1]
	s_cbranch_execz .LBB14_404
; %bb.408:                              ;   in Loop: Header=BB14_407 Depth=1
	global_load_dword v0, v[8:9], off offset:20 glc
	s_waitcnt vmcnt(0)
	buffer_wbinvl1_vol
	v_and_b32_e32 v0, 1, v0
	s_branch .LBB14_404
.LBB14_409:
	global_load_dwordx2 v[2:3], v[6:7], off
	s_and_saveexec_b64 s[6:7], s[0:1]
	s_cbranch_execz .LBB14_412
; %bb.410:
	v_mov_b32_e32 v8, 0
	global_load_dwordx2 v[0:1], v8, s[2:3] offset:40
	global_load_dwordx2 v[11:12], v8, s[2:3] offset:24 glc
	global_load_dwordx2 v[4:5], v8, s[2:3]
	s_waitcnt vmcnt(2)
	v_readfirstlane_b32 s8, v0
	v_readfirstlane_b32 s9, v1
	s_add_u32 s10, s8, 1
	s_addc_u32 s11, s9, 0
	s_add_u32 s0, s10, s4
	s_addc_u32 s1, s11, s5
	s_cmp_eq_u64 s[0:1], 0
	s_cselect_b32 s1, s11, s1
	s_cselect_b32 s0, s10, s0
	s_and_b64 s[4:5], s[0:1], s[8:9]
	s_mul_i32 s5, s5, 24
	s_mul_hi_u32 s8, s4, 24
	s_mul_i32 s4, s4, 24
	s_add_i32 s5, s8, s5
	v_mov_b32_e32 v1, s5
	s_waitcnt vmcnt(0)
	v_add_co_u32_e32 v0, vcc, s4, v4
	v_addc_co_u32_e32 v1, vcc, v5, v1, vcc
	v_mov_b32_e32 v9, s0
	global_store_dwordx2 v[0:1], v[11:12], off
	v_mov_b32_e32 v10, s1
	s_waitcnt vmcnt(0)
	global_atomic_cmpswap_x2 v[6:7], v8, v[9:12], s[2:3] offset:24 glc
	s_mov_b64 s[4:5], 0
	s_waitcnt vmcnt(0)
	v_cmp_ne_u64_e32 vcc, v[6:7], v[11:12]
	s_and_b64 exec, exec, vcc
	s_cbranch_execz .LBB14_412
.LBB14_411:                             ; =>This Inner Loop Header: Depth=1
	s_sleep 1
	global_store_dwordx2 v[0:1], v[6:7], off
	v_mov_b32_e32 v4, s0
	v_mov_b32_e32 v5, s1
	s_waitcnt vmcnt(0)
	global_atomic_cmpswap_x2 v[4:5], v8, v[4:7], s[2:3] offset:24 glc
	s_waitcnt vmcnt(0)
	v_cmp_eq_u64_e32 vcc, v[4:5], v[6:7]
	v_mov_b32_e32 v7, v5
	s_or_b64 s[4:5], vcc, s[4:5]
	v_mov_b32_e32 v6, v4
	s_andn2_b64 exec, exec, s[4:5]
	s_cbranch_execnz .LBB14_411
.LBB14_412:
	s_or_b64 exec, exec, s[6:7]
.LBB14_413:
	v_readfirstlane_b32 s0, v32
	s_waitcnt vmcnt(0)
	v_mov_b32_e32 v0, 0
	v_mov_b32_e32 v1, 0
	v_cmp_eq_u32_e64 s[0:1], s0, v32
	s_and_saveexec_b64 s[4:5], s[0:1]
	s_cbranch_execz .LBB14_419
; %bb.414:
	v_mov_b32_e32 v4, 0
	global_load_dwordx2 v[7:8], v4, s[2:3] offset:24 glc
	s_waitcnt vmcnt(0)
	buffer_wbinvl1_vol
	global_load_dwordx2 v[0:1], v4, s[2:3] offset:40
	global_load_dwordx2 v[5:6], v4, s[2:3]
	s_waitcnt vmcnt(1)
	v_and_b32_e32 v0, v0, v7
	v_and_b32_e32 v1, v1, v8
	v_mul_lo_u32 v1, v1, 24
	v_mul_hi_u32 v9, v0, 24
	v_mul_lo_u32 v0, v0, 24
	v_add_u32_e32 v1, v9, v1
	s_waitcnt vmcnt(0)
	v_add_co_u32_e32 v0, vcc, v5, v0
	v_addc_co_u32_e32 v1, vcc, v6, v1, vcc
	global_load_dwordx2 v[5:6], v[0:1], off glc
	s_waitcnt vmcnt(0)
	global_atomic_cmpswap_x2 v[0:1], v4, v[5:8], s[2:3] offset:24 glc
	s_waitcnt vmcnt(0)
	buffer_wbinvl1_vol
	v_cmp_ne_u64_e32 vcc, v[0:1], v[7:8]
	s_and_saveexec_b64 s[6:7], vcc
	s_cbranch_execz .LBB14_418
; %bb.415:
	s_mov_b64 s[8:9], 0
.LBB14_416:                             ; =>This Inner Loop Header: Depth=1
	s_sleep 1
	global_load_dwordx2 v[5:6], v4, s[2:3] offset:40
	global_load_dwordx2 v[9:10], v4, s[2:3]
	v_mov_b32_e32 v8, v1
	v_mov_b32_e32 v7, v0
	s_waitcnt vmcnt(1)
	v_and_b32_e32 v0, v5, v7
	s_waitcnt vmcnt(0)
	v_mad_u64_u32 v[0:1], s[10:11], v0, 24, v[9:10]
	v_and_b32_e32 v5, v6, v8
	v_mad_u64_u32 v[5:6], s[10:11], v5, 24, v[1:2]
	v_mov_b32_e32 v1, v5
	global_load_dwordx2 v[5:6], v[0:1], off glc
	s_waitcnt vmcnt(0)
	global_atomic_cmpswap_x2 v[0:1], v4, v[5:8], s[2:3] offset:24 glc
	s_waitcnt vmcnt(0)
	buffer_wbinvl1_vol
	v_cmp_eq_u64_e32 vcc, v[0:1], v[7:8]
	s_or_b64 s[8:9], vcc, s[8:9]
	s_andn2_b64 exec, exec, s[8:9]
	s_cbranch_execnz .LBB14_416
; %bb.417:
	s_or_b64 exec, exec, s[8:9]
.LBB14_418:
	s_or_b64 exec, exec, s[6:7]
.LBB14_419:
	s_or_b64 exec, exec, s[4:5]
	v_mov_b32_e32 v5, 0
	global_load_dwordx2 v[10:11], v5, s[2:3] offset:40
	global_load_dwordx4 v[6:9], v5, s[2:3]
	v_readfirstlane_b32 s5, v1
	v_readfirstlane_b32 s4, v0
	s_mov_b64 s[6:7], exec
	s_waitcnt vmcnt(1)
	v_readfirstlane_b32 s8, v10
	v_readfirstlane_b32 s9, v11
	s_and_b64 s[8:9], s[8:9], s[4:5]
	s_mul_i32 s10, s9, 24
	s_mul_hi_u32 s11, s8, 24
	s_mul_i32 s12, s8, 24
	s_add_i32 s10, s11, s10
	v_mov_b32_e32 v0, s10
	s_waitcnt vmcnt(0)
	v_add_co_u32_e32 v10, vcc, s12, v6
	v_addc_co_u32_e32 v11, vcc, v7, v0, vcc
	s_and_saveexec_b64 s[10:11], s[0:1]
	s_cbranch_execz .LBB14_421
; %bb.420:
	v_mov_b32_e32 v13, s7
	v_mov_b32_e32 v12, s6
	;; [unrolled: 1-line block ×4, first 2 shown]
	global_store_dwordx4 v[10:11], v[12:15], off offset:8
.LBB14_421:
	s_or_b64 exec, exec, s[10:11]
	s_lshl_b64 s[6:7], s[8:9], 12
	v_mov_b32_e32 v0, s7
	v_add_co_u32_e32 v1, vcc, s6, v8
	v_addc_co_u32_e32 v0, vcc, v9, v0, vcc
	s_movk_i32 s6, 0xff1d
	v_and_or_b32 v2, v2, s6, 34
	s_mov_b32 s8, 0
	v_mov_b32_e32 v4, 0x48
	v_readfirstlane_b32 s6, v1
	v_readfirstlane_b32 s7, v0
	s_mov_b32 s9, s8
	s_mov_b32 s10, s8
	;; [unrolled: 1-line block ×3, first 2 shown]
	s_nop 1
	global_store_dwordx4 v31, v[2:5], s[6:7]
	v_mov_b32_e32 v0, s8
	v_mov_b32_e32 v1, s9
	;; [unrolled: 1-line block ×4, first 2 shown]
	global_store_dwordx4 v31, v[0:3], s[6:7] offset:16
	global_store_dwordx4 v31, v[0:3], s[6:7] offset:32
	;; [unrolled: 1-line block ×3, first 2 shown]
	s_and_saveexec_b64 s[6:7], s[0:1]
	s_cbranch_execz .LBB14_429
; %bb.422:
	v_mov_b32_e32 v8, 0
	global_load_dwordx2 v[14:15], v8, s[2:3] offset:32 glc
	global_load_dwordx2 v[0:1], v8, s[2:3] offset:40
	v_mov_b32_e32 v12, s4
	v_mov_b32_e32 v13, s5
	s_waitcnt vmcnt(0)
	v_readfirstlane_b32 s8, v0
	v_readfirstlane_b32 s9, v1
	s_and_b64 s[8:9], s[8:9], s[4:5]
	s_mul_i32 s9, s9, 24
	s_mul_hi_u32 s10, s8, 24
	s_mul_i32 s8, s8, 24
	s_add_i32 s9, s10, s9
	v_mov_b32_e32 v0, s9
	v_add_co_u32_e32 v4, vcc, s8, v6
	v_addc_co_u32_e32 v5, vcc, v7, v0, vcc
	global_store_dwordx2 v[4:5], v[14:15], off
	s_waitcnt vmcnt(0)
	global_atomic_cmpswap_x2 v[2:3], v8, v[12:15], s[2:3] offset:32 glc
	s_waitcnt vmcnt(0)
	v_cmp_ne_u64_e32 vcc, v[2:3], v[14:15]
	s_and_saveexec_b64 s[8:9], vcc
	s_cbranch_execz .LBB14_425
; %bb.423:
	s_mov_b64 s[10:11], 0
.LBB14_424:                             ; =>This Inner Loop Header: Depth=1
	s_sleep 1
	global_store_dwordx2 v[4:5], v[2:3], off
	v_mov_b32_e32 v0, s4
	v_mov_b32_e32 v1, s5
	s_waitcnt vmcnt(0)
	global_atomic_cmpswap_x2 v[0:1], v8, v[0:3], s[2:3] offset:32 glc
	s_waitcnt vmcnt(0)
	v_cmp_eq_u64_e32 vcc, v[0:1], v[2:3]
	v_mov_b32_e32 v3, v1
	s_or_b64 s[10:11], vcc, s[10:11]
	v_mov_b32_e32 v2, v0
	s_andn2_b64 exec, exec, s[10:11]
	s_cbranch_execnz .LBB14_424
.LBB14_425:
	s_or_b64 exec, exec, s[8:9]
	v_mov_b32_e32 v3, 0
	global_load_dwordx2 v[0:1], v3, s[2:3] offset:16
	s_mov_b64 s[8:9], exec
	v_mbcnt_lo_u32_b32 v2, s8, 0
	v_mbcnt_hi_u32_b32 v2, s9, v2
	v_cmp_eq_u32_e32 vcc, 0, v2
	s_and_saveexec_b64 s[10:11], vcc
	s_cbranch_execz .LBB14_427
; %bb.426:
	s_bcnt1_i32_b64 s8, s[8:9]
	v_mov_b32_e32 v2, s8
	s_waitcnt vmcnt(0)
	global_atomic_add_x2 v[0:1], v[2:3], off offset:8
.LBB14_427:
	s_or_b64 exec, exec, s[10:11]
	s_waitcnt vmcnt(0)
	global_load_dwordx2 v[2:3], v[0:1], off offset:16
	s_waitcnt vmcnt(0)
	v_cmp_eq_u64_e32 vcc, 0, v[2:3]
	s_cbranch_vccnz .LBB14_429
; %bb.428:
	global_load_dword v0, v[0:1], off offset:24
	v_mov_b32_e32 v1, 0
	s_waitcnt vmcnt(0)
	v_readfirstlane_b32 s8, v0
	s_and_b32 m0, s8, 0xffffff
	global_store_dwordx2 v[2:3], v[0:1], off
	s_sendmsg sendmsg(MSG_INTERRUPT)
.LBB14_429:
	s_or_b64 exec, exec, s[6:7]
	s_branch .LBB14_433
.LBB14_430:                             ;   in Loop: Header=BB14_433 Depth=1
	s_or_b64 exec, exec, s[6:7]
	v_readfirstlane_b32 s6, v0
	s_cmp_eq_u32 s6, 0
	s_cbranch_scc1 .LBB14_432
; %bb.431:                              ;   in Loop: Header=BB14_433 Depth=1
	s_sleep 1
	s_cbranch_execnz .LBB14_433
	s_branch .LBB14_435
.LBB14_432:
	s_branch .LBB14_435
.LBB14_433:                             ; =>This Inner Loop Header: Depth=1
	v_mov_b32_e32 v0, 1
	s_and_saveexec_b64 s[6:7], s[0:1]
	s_cbranch_execz .LBB14_430
; %bb.434:                              ;   in Loop: Header=BB14_433 Depth=1
	global_load_dword v0, v[10:11], off offset:20 glc
	s_waitcnt vmcnt(0)
	buffer_wbinvl1_vol
	v_and_b32_e32 v0, 1, v0
	s_branch .LBB14_430
.LBB14_435:
	s_and_saveexec_b64 s[6:7], s[0:1]
	s_cbranch_execz .LBB14_438
; %bb.436:
	v_mov_b32_e32 v6, 0
	global_load_dwordx2 v[0:1], v6, s[2:3] offset:40
	global_load_dwordx2 v[9:10], v6, s[2:3] offset:24 glc
	global_load_dwordx2 v[2:3], v6, s[2:3]
	s_waitcnt vmcnt(2)
	v_readfirstlane_b32 s8, v0
	v_readfirstlane_b32 s9, v1
	s_add_u32 s10, s8, 1
	s_addc_u32 s11, s9, 0
	s_add_u32 s0, s10, s4
	s_addc_u32 s1, s11, s5
	s_cmp_eq_u64 s[0:1], 0
	s_cselect_b32 s1, s11, s1
	s_cselect_b32 s0, s10, s0
	s_and_b64 s[4:5], s[0:1], s[8:9]
	s_mul_i32 s5, s5, 24
	s_mul_hi_u32 s8, s4, 24
	s_mul_i32 s4, s4, 24
	s_add_i32 s5, s8, s5
	v_mov_b32_e32 v0, s5
	s_waitcnt vmcnt(0)
	v_add_co_u32_e32 v4, vcc, s4, v2
	v_addc_co_u32_e32 v5, vcc, v3, v0, vcc
	v_mov_b32_e32 v7, s0
	global_store_dwordx2 v[4:5], v[9:10], off
	v_mov_b32_e32 v8, s1
	s_waitcnt vmcnt(0)
	global_atomic_cmpswap_x2 v[2:3], v6, v[7:10], s[2:3] offset:24 glc
	s_mov_b64 s[4:5], 0
	s_waitcnt vmcnt(0)
	v_cmp_ne_u64_e32 vcc, v[2:3], v[9:10]
	s_and_b64 exec, exec, vcc
	s_cbranch_execz .LBB14_438
.LBB14_437:                             ; =>This Inner Loop Header: Depth=1
	s_sleep 1
	global_store_dwordx2 v[4:5], v[2:3], off
	v_mov_b32_e32 v0, s0
	v_mov_b32_e32 v1, s1
	s_waitcnt vmcnt(0)
	global_atomic_cmpswap_x2 v[0:1], v6, v[0:3], s[2:3] offset:24 glc
	s_waitcnt vmcnt(0)
	v_cmp_eq_u64_e32 vcc, v[0:1], v[2:3]
	v_mov_b32_e32 v3, v1
	s_or_b64 s[4:5], vcc, s[4:5]
	v_mov_b32_e32 v2, v0
	s_andn2_b64 exec, exec, s[4:5]
	s_cbranch_execnz .LBB14_437
.LBB14_438:
	s_or_b64 exec, exec, s[6:7]
	s_trap 2
	; divergent unreachable
	s_endpgm
	.section	.rodata,"a",@progbits
	.p2align	6, 0x0
	.amdhsa_kernel _ZN9rocsparseL39csr2csr_compress_fill_warp_start_deviceILj256ELj64ELj2E21rocsparse_complex_numIdEEEviPKT2_PjS3_
		.amdhsa_group_segment_fixed_size 0
		.amdhsa_private_segment_fixed_size 0
		.amdhsa_kernarg_size 296
		.amdhsa_user_sgpr_count 6
		.amdhsa_user_sgpr_private_segment_buffer 1
		.amdhsa_user_sgpr_dispatch_ptr 0
		.amdhsa_user_sgpr_queue_ptr 0
		.amdhsa_user_sgpr_kernarg_segment_ptr 1
		.amdhsa_user_sgpr_dispatch_id 0
		.amdhsa_user_sgpr_flat_scratch_init 0
		.amdhsa_user_sgpr_private_segment_size 0
		.amdhsa_uses_dynamic_stack 0
		.amdhsa_system_sgpr_private_segment_wavefront_offset 0
		.amdhsa_system_sgpr_workgroup_id_x 1
		.amdhsa_system_sgpr_workgroup_id_y 0
		.amdhsa_system_sgpr_workgroup_id_z 0
		.amdhsa_system_sgpr_workgroup_info 0
		.amdhsa_system_vgpr_workitem_id 0
		.amdhsa_next_free_vgpr 34
		.amdhsa_next_free_sgpr 22
		.amdhsa_reserve_vcc 1
		.amdhsa_reserve_flat_scratch 0
		.amdhsa_float_round_mode_32 0
		.amdhsa_float_round_mode_16_64 0
		.amdhsa_float_denorm_mode_32 3
		.amdhsa_float_denorm_mode_16_64 3
		.amdhsa_dx10_clamp 1
		.amdhsa_ieee_mode 1
		.amdhsa_fp16_overflow 0
		.amdhsa_exception_fp_ieee_invalid_op 0
		.amdhsa_exception_fp_denorm_src 0
		.amdhsa_exception_fp_ieee_div_zero 0
		.amdhsa_exception_fp_ieee_overflow 0
		.amdhsa_exception_fp_ieee_underflow 0
		.amdhsa_exception_fp_ieee_inexact 0
		.amdhsa_exception_int_div_zero 0
	.end_amdhsa_kernel
	.section	.text._ZN9rocsparseL39csr2csr_compress_fill_warp_start_deviceILj256ELj64ELj2E21rocsparse_complex_numIdEEEviPKT2_PjS3_,"axG",@progbits,_ZN9rocsparseL39csr2csr_compress_fill_warp_start_deviceILj256ELj64ELj2E21rocsparse_complex_numIdEEEviPKT2_PjS3_,comdat
.Lfunc_end14:
	.size	_ZN9rocsparseL39csr2csr_compress_fill_warp_start_deviceILj256ELj64ELj2E21rocsparse_complex_numIdEEEviPKT2_PjS3_, .Lfunc_end14-_ZN9rocsparseL39csr2csr_compress_fill_warp_start_deviceILj256ELj64ELj2E21rocsparse_complex_numIdEEEviPKT2_PjS3_
                                        ; -- End function
	.set _ZN9rocsparseL39csr2csr_compress_fill_warp_start_deviceILj256ELj64ELj2E21rocsparse_complex_numIdEEEviPKT2_PjS3_.num_vgpr, 34
	.set _ZN9rocsparseL39csr2csr_compress_fill_warp_start_deviceILj256ELj64ELj2E21rocsparse_complex_numIdEEEviPKT2_PjS3_.num_agpr, 0
	.set _ZN9rocsparseL39csr2csr_compress_fill_warp_start_deviceILj256ELj64ELj2E21rocsparse_complex_numIdEEEviPKT2_PjS3_.numbered_sgpr, 22
	.set _ZN9rocsparseL39csr2csr_compress_fill_warp_start_deviceILj256ELj64ELj2E21rocsparse_complex_numIdEEEviPKT2_PjS3_.num_named_barrier, 0
	.set _ZN9rocsparseL39csr2csr_compress_fill_warp_start_deviceILj256ELj64ELj2E21rocsparse_complex_numIdEEEviPKT2_PjS3_.private_seg_size, 0
	.set _ZN9rocsparseL39csr2csr_compress_fill_warp_start_deviceILj256ELj64ELj2E21rocsparse_complex_numIdEEEviPKT2_PjS3_.uses_vcc, 1
	.set _ZN9rocsparseL39csr2csr_compress_fill_warp_start_deviceILj256ELj64ELj2E21rocsparse_complex_numIdEEEviPKT2_PjS3_.uses_flat_scratch, 0
	.set _ZN9rocsparseL39csr2csr_compress_fill_warp_start_deviceILj256ELj64ELj2E21rocsparse_complex_numIdEEEviPKT2_PjS3_.has_dyn_sized_stack, 0
	.set _ZN9rocsparseL39csr2csr_compress_fill_warp_start_deviceILj256ELj64ELj2E21rocsparse_complex_numIdEEEviPKT2_PjS3_.has_recursion, 0
	.set _ZN9rocsparseL39csr2csr_compress_fill_warp_start_deviceILj256ELj64ELj2E21rocsparse_complex_numIdEEEviPKT2_PjS3_.has_indirect_call, 0
	.section	.AMDGPU.csdata,"",@progbits
; Kernel info:
; codeLenInByte = 15640
; TotalNumSgprs: 26
; NumVgprs: 34
; ScratchSize: 0
; MemoryBound: 0
; FloatMode: 240
; IeeeMode: 1
; LDSByteSize: 0 bytes/workgroup (compile time only)
; SGPRBlocks: 3
; VGPRBlocks: 8
; NumSGPRsForWavesPerEU: 26
; NumVGPRsForWavesPerEU: 34
; Occupancy: 7
; WaveLimiterHint : 1
; COMPUTE_PGM_RSRC2:SCRATCH_EN: 0
; COMPUTE_PGM_RSRC2:USER_SGPR: 6
; COMPUTE_PGM_RSRC2:TRAP_HANDLER: 0
; COMPUTE_PGM_RSRC2:TGID_X_EN: 1
; COMPUTE_PGM_RSRC2:TGID_Y_EN: 0
; COMPUTE_PGM_RSRC2:TGID_Z_EN: 0
; COMPUTE_PGM_RSRC2:TIDIG_COMP_CNT: 0
	.section	.text._ZN9rocsparseL38csr2csr_compress_use_warp_start_deviceILj256ELj32ELj2E21rocsparse_complex_numIdEEEvi21rocsparse_index_base_PKT2_PKiS3_PS4_PiPKjS4_,"axG",@progbits,_ZN9rocsparseL38csr2csr_compress_use_warp_start_deviceILj256ELj32ELj2E21rocsparse_complex_numIdEEEvi21rocsparse_index_base_PKT2_PKiS3_PS4_PiPKjS4_,comdat
	.globl	_ZN9rocsparseL38csr2csr_compress_use_warp_start_deviceILj256ELj32ELj2E21rocsparse_complex_numIdEEEvi21rocsparse_index_base_PKT2_PKiS3_PS4_PiPKjS4_ ; -- Begin function _ZN9rocsparseL38csr2csr_compress_use_warp_start_deviceILj256ELj32ELj2E21rocsparse_complex_numIdEEEvi21rocsparse_index_base_PKT2_PKiS3_PS4_PiPKjS4_
	.p2align	8
	.type	_ZN9rocsparseL38csr2csr_compress_use_warp_start_deviceILj256ELj32ELj2E21rocsparse_complex_numIdEEEvi21rocsparse_index_base_PKT2_PKiS3_PS4_PiPKjS4_,@function
_ZN9rocsparseL38csr2csr_compress_use_warp_start_deviceILj256ELj32ELj2E21rocsparse_complex_numIdEEEvi21rocsparse_index_base_PKT2_PKiS3_PS4_PiPKjS4_: ; @_ZN9rocsparseL38csr2csr_compress_use_warp_start_deviceILj256ELj32ELj2E21rocsparse_complex_numIdEEEvi21rocsparse_index_base_PKT2_PKiS3_PS4_PiPKjS4_
; %bb.0:
	s_load_dwordx4 s[16:19], s[4:5], 0x0
	s_load_dwordx2 s[2:3], s[4:5], 0x10
	s_load_dword s0, s[4:5], 0x18
	s_load_dwordx8 s[8:15], s[4:5], 0x20
	v_lshl_or_b32 v4, s6, 9, v0
	v_lshrrev_b32_e32 v1, 5, v0
	v_not_b32_e32 v0, v0
	v_lshrrev_b32_e64 v13, v0, -1
	v_lshl_or_b32 v6, s6, 4, v1
	s_waitcnt lgkmcnt(0)
	s_sub_i32 s28, s0, s17
	v_cmp_gt_i32_e32 vcc, s16, v4
	s_mov_b64 s[0:1], -1
	s_mov_b64 s[6:7], 0
	s_and_saveexec_b64 s[20:21], vcc
	s_cbranch_execnz .LBB15_4
; %bb.1:
	s_or_b64 exec, exec, s[20:21]
	s_and_saveexec_b64 s[20:21], s[0:1]
	s_cbranch_execnz .LBB15_23
.LBB15_2:
	s_or_b64 exec, exec, s[20:21]
	s_and_saveexec_b64 s[0:1], s[6:7]
	s_xor_b64 s[0:1], exec, s[0:1]
	s_cbranch_execnz .LBB15_44
.LBB15_3:
	s_endpgm
.LBB15_4:
	v_ashrrev_i32_e32 v5, 31, v4
	v_lshlrev_b64 v[0:1], 4, v[4:5]
	v_mov_b32_e32 v2, s19
	v_add_co_u32_e32 v0, vcc, s18, v0
	v_addc_co_u32_e32 v1, vcc, v2, v1, vcc
	global_load_dwordx4 v[0:3], v[0:1], off glc slc
                                        ; implicit-def: $vgpr11_vgpr12
	s_waitcnt vmcnt(0)
	v_cmp_gt_f64_e32 vcc, 0, v[0:1]
	v_xor_b32_e32 v8, 0x80000000, v1
	v_xor_b32_e32 v9, 0x80000000, v3
	v_mov_b32_e32 v7, v0
	v_cndmask_b32_e32 v8, v1, v8, vcc
	v_cmp_gt_f64_e32 vcc, 0, v[2:3]
	v_cndmask_b32_e32 v10, v3, v9, vcc
	v_mov_b32_e32 v9, v2
	v_cmp_ngt_f64_e64 s[0:1], v[7:8], v[9:10]
	s_and_saveexec_b64 s[6:7], s[0:1]
	s_xor_b64 s[6:7], exec, s[6:7]
	s_cbranch_execz .LBB15_8
; %bb.5:
	v_cmp_neq_f64_e32 vcc, 0, v[2:3]
	v_mov_b32_e32 v11, 0
	v_mov_b32_e32 v12, 0
	s_and_saveexec_b64 s[22:23], vcc
	s_cbranch_execz .LBB15_7
; %bb.6:
	v_div_scale_f64 v[11:12], s[24:25], v[9:10], v[9:10], v[7:8]
	s_mov_b32 s24, 0
	s_brev_b32 s25, 8
	v_rcp_f64_e32 v[14:15], v[11:12]
	v_fma_f64 v[16:17], -v[11:12], v[14:15], 1.0
	v_fma_f64 v[14:15], v[14:15], v[16:17], v[14:15]
	v_div_scale_f64 v[16:17], vcc, v[7:8], v[9:10], v[7:8]
	v_fma_f64 v[18:19], -v[11:12], v[14:15], 1.0
	v_fma_f64 v[14:15], v[14:15], v[18:19], v[14:15]
	v_mul_f64 v[18:19], v[16:17], v[14:15]
	v_fma_f64 v[11:12], -v[11:12], v[18:19], v[16:17]
	v_div_fmas_f64 v[11:12], v[11:12], v[14:15], v[18:19]
	v_mov_b32_e32 v14, 0x100
	v_div_fixup_f64 v[11:12], v[11:12], v[9:10], v[7:8]
	v_fma_f64 v[11:12], v[11:12], v[11:12], 1.0
	v_cmp_gt_f64_e32 vcc, s[24:25], v[11:12]
	v_cndmask_b32_e32 v14, 0, v14, vcc
	v_ldexp_f64 v[11:12], v[11:12], v14
	v_rsq_f64_e32 v[14:15], v[11:12]
	v_mul_f64 v[16:17], v[11:12], v[14:15]
	v_mul_f64 v[14:15], v[14:15], 0.5
	v_fma_f64 v[18:19], -v[14:15], v[16:17], 0.5
	v_fma_f64 v[16:17], v[16:17], v[18:19], v[16:17]
	v_fma_f64 v[14:15], v[14:15], v[18:19], v[14:15]
	v_fma_f64 v[18:19], -v[16:17], v[16:17], v[11:12]
	v_fma_f64 v[16:17], v[18:19], v[14:15], v[16:17]
	v_fma_f64 v[18:19], -v[16:17], v[16:17], v[11:12]
	v_fma_f64 v[14:15], v[18:19], v[14:15], v[16:17]
	v_mov_b32_e32 v16, 0xffffff80
	v_mov_b32_e32 v17, 0x260
	v_cndmask_b32_e32 v16, 0, v16, vcc
	v_cmp_class_f64_e32 vcc, v[11:12], v17
	v_ldexp_f64 v[14:15], v[14:15], v16
	v_cndmask_b32_e32 v12, v15, v12, vcc
	v_cndmask_b32_e32 v11, v14, v11, vcc
	v_mul_f64 v[11:12], v[9:10], v[11:12]
.LBB15_7:
	s_or_b64 exec, exec, s[22:23]
.LBB15_8:
	s_andn2_saveexec_b64 s[6:7], s[6:7]
	s_cbranch_execz .LBB15_10
; %bb.9:
	v_div_scale_f64 v[11:12], s[22:23], v[7:8], v[7:8], v[9:10]
	s_mov_b32 s22, 0
	s_brev_b32 s23, 8
	v_rcp_f64_e32 v[14:15], v[11:12]
	v_fma_f64 v[16:17], -v[11:12], v[14:15], 1.0
	v_fma_f64 v[14:15], v[14:15], v[16:17], v[14:15]
	v_div_scale_f64 v[16:17], vcc, v[9:10], v[7:8], v[9:10]
	v_fma_f64 v[18:19], -v[11:12], v[14:15], 1.0
	v_fma_f64 v[14:15], v[14:15], v[18:19], v[14:15]
	v_mul_f64 v[18:19], v[16:17], v[14:15]
	v_fma_f64 v[11:12], -v[11:12], v[18:19], v[16:17]
	v_div_fmas_f64 v[11:12], v[11:12], v[14:15], v[18:19]
	v_mov_b32_e32 v14, 0x100
	v_div_fixup_f64 v[11:12], v[11:12], v[7:8], v[9:10]
	v_fma_f64 v[11:12], v[11:12], v[11:12], 1.0
	v_cmp_gt_f64_e32 vcc, s[22:23], v[11:12]
	v_cndmask_b32_e32 v14, 0, v14, vcc
	v_ldexp_f64 v[11:12], v[11:12], v14
	v_rsq_f64_e32 v[14:15], v[11:12]
	v_mul_f64 v[16:17], v[11:12], v[14:15]
	v_mul_f64 v[14:15], v[14:15], 0.5
	v_fma_f64 v[18:19], -v[14:15], v[16:17], 0.5
	v_fma_f64 v[16:17], v[16:17], v[18:19], v[16:17]
	v_fma_f64 v[14:15], v[14:15], v[18:19], v[14:15]
	v_fma_f64 v[18:19], -v[16:17], v[16:17], v[11:12]
	v_fma_f64 v[16:17], v[18:19], v[14:15], v[16:17]
	v_fma_f64 v[18:19], -v[16:17], v[16:17], v[11:12]
	v_fma_f64 v[14:15], v[18:19], v[14:15], v[16:17]
	v_mov_b32_e32 v16, 0xffffff80
	v_mov_b32_e32 v17, 0x260
	v_cndmask_b32_e32 v16, 0, v16, vcc
	v_cmp_class_f64_e32 vcc, v[11:12], v17
	v_ldexp_f64 v[14:15], v[14:15], v16
	v_cndmask_b32_e32 v12, v15, v12, vcc
	v_cndmask_b32_e32 v11, v14, v11, vcc
	v_mul_f64 v[11:12], v[7:8], v[11:12]
.LBB15_10:
	s_or_b64 exec, exec, s[6:7]
	v_cmp_lt_f64_e32 vcc, s[14:15], v[11:12]
	s_mov_b64 s[22:23], 0
	s_and_saveexec_b64 s[6:7], vcc
	s_cbranch_execz .LBB15_18
; %bb.11:
                                        ; implicit-def: $vgpr11_vgpr12
	s_and_saveexec_b64 s[22:23], s[0:1]
	s_xor_b64 s[0:1], exec, s[22:23]
	s_cbranch_execz .LBB15_15
; %bb.12:
	v_cmp_neq_f64_e32 vcc, 0, v[2:3]
	v_mov_b32_e32 v11, 0
	v_mov_b32_e32 v12, 0
	s_and_saveexec_b64 s[22:23], vcc
	s_cbranch_execz .LBB15_14
; %bb.13:
	v_div_scale_f64 v[11:12], s[24:25], v[9:10], v[9:10], v[7:8]
	s_mov_b32 s24, 0
	s_brev_b32 s25, 8
	v_rcp_f64_e32 v[14:15], v[11:12]
	v_fma_f64 v[16:17], -v[11:12], v[14:15], 1.0
	v_fma_f64 v[14:15], v[14:15], v[16:17], v[14:15]
	v_div_scale_f64 v[16:17], vcc, v[7:8], v[9:10], v[7:8]
	v_fma_f64 v[18:19], -v[11:12], v[14:15], 1.0
	v_fma_f64 v[14:15], v[14:15], v[18:19], v[14:15]
	v_mul_f64 v[18:19], v[16:17], v[14:15]
	v_fma_f64 v[11:12], -v[11:12], v[18:19], v[16:17]
	v_div_fmas_f64 v[11:12], v[11:12], v[14:15], v[18:19]
	v_div_fixup_f64 v[7:8], v[11:12], v[9:10], v[7:8]
	v_mov_b32_e32 v11, 0x100
	v_fma_f64 v[7:8], v[7:8], v[7:8], 1.0
	v_cmp_gt_f64_e32 vcc, s[24:25], v[7:8]
	v_cndmask_b32_e32 v11, 0, v11, vcc
	v_ldexp_f64 v[7:8], v[7:8], v11
	v_rsq_f64_e32 v[11:12], v[7:8]
	v_mul_f64 v[14:15], v[7:8], v[11:12]
	v_mul_f64 v[11:12], v[11:12], 0.5
	v_fma_f64 v[16:17], -v[11:12], v[14:15], 0.5
	v_fma_f64 v[14:15], v[14:15], v[16:17], v[14:15]
	v_fma_f64 v[11:12], v[11:12], v[16:17], v[11:12]
	v_fma_f64 v[16:17], -v[14:15], v[14:15], v[7:8]
	v_fma_f64 v[14:15], v[16:17], v[11:12], v[14:15]
	v_fma_f64 v[16:17], -v[14:15], v[14:15], v[7:8]
	v_fma_f64 v[11:12], v[16:17], v[11:12], v[14:15]
	v_mov_b32_e32 v14, 0xffffff80
	v_mov_b32_e32 v15, 0x260
	v_cndmask_b32_e32 v14, 0, v14, vcc
	v_cmp_class_f64_e32 vcc, v[7:8], v15
	v_ldexp_f64 v[11:12], v[11:12], v14
	v_cndmask_b32_e32 v8, v12, v8, vcc
	v_cndmask_b32_e32 v7, v11, v7, vcc
	v_mul_f64 v[11:12], v[9:10], v[7:8]
.LBB15_14:
	s_or_b64 exec, exec, s[22:23]
                                        ; implicit-def: $vgpr7_vgpr8
                                        ; implicit-def: $vgpr9_vgpr10
.LBB15_15:
	s_andn2_saveexec_b64 s[0:1], s[0:1]
	s_cbranch_execz .LBB15_17
; %bb.16:
	v_div_scale_f64 v[11:12], s[22:23], v[7:8], v[7:8], v[9:10]
	s_mov_b32 s22, 0
	s_brev_b32 s23, 8
	v_rcp_f64_e32 v[14:15], v[11:12]
	v_fma_f64 v[16:17], -v[11:12], v[14:15], 1.0
	v_fma_f64 v[14:15], v[14:15], v[16:17], v[14:15]
	v_div_scale_f64 v[16:17], vcc, v[9:10], v[7:8], v[9:10]
	v_fma_f64 v[18:19], -v[11:12], v[14:15], 1.0
	v_fma_f64 v[14:15], v[14:15], v[18:19], v[14:15]
	v_mul_f64 v[18:19], v[16:17], v[14:15]
	v_fma_f64 v[11:12], -v[11:12], v[18:19], v[16:17]
	v_div_fmas_f64 v[11:12], v[11:12], v[14:15], v[18:19]
	v_div_fixup_f64 v[9:10], v[11:12], v[7:8], v[9:10]
	v_mov_b32_e32 v11, 0x100
	v_fma_f64 v[9:10], v[9:10], v[9:10], 1.0
	v_cmp_gt_f64_e32 vcc, s[22:23], v[9:10]
	v_cndmask_b32_e32 v11, 0, v11, vcc
	v_ldexp_f64 v[9:10], v[9:10], v11
	v_rsq_f64_e32 v[11:12], v[9:10]
	v_mul_f64 v[14:15], v[9:10], v[11:12]
	v_mul_f64 v[11:12], v[11:12], 0.5
	v_fma_f64 v[16:17], -v[11:12], v[14:15], 0.5
	v_fma_f64 v[14:15], v[14:15], v[16:17], v[14:15]
	v_fma_f64 v[11:12], v[11:12], v[16:17], v[11:12]
	v_fma_f64 v[16:17], -v[14:15], v[14:15], v[9:10]
	v_fma_f64 v[14:15], v[16:17], v[11:12], v[14:15]
	v_fma_f64 v[16:17], -v[14:15], v[14:15], v[9:10]
	v_fma_f64 v[11:12], v[16:17], v[11:12], v[14:15]
	v_mov_b32_e32 v14, 0xffffff80
	v_mov_b32_e32 v15, 0x260
	v_cndmask_b32_e32 v14, 0, v14, vcc
	v_cmp_class_f64_e32 vcc, v[9:10], v15
	v_ldexp_f64 v[11:12], v[11:12], v14
	v_cndmask_b32_e32 v10, v12, v10, vcc
	v_cndmask_b32_e32 v9, v11, v9, vcc
	v_mul_f64 v[11:12], v[7:8], v[9:10]
.LBB15_17:
	s_or_b64 exec, exec, s[0:1]
	s_mov_b32 s0, 0
	s_mov_b32 s1, 0x38100000
	v_cmp_lt_f64_e32 vcc, s[0:1], v[11:12]
	s_and_b64 s[22:23], vcc, exec
.LBB15_18:
	s_or_b64 exec, exec, s[6:7]
	v_cndmask_b32_e64 v7, 0, 1, s[22:23]
	v_cmp_ne_u32_e32 vcc, 0, v7
	s_mov_b64 s[24:25], -1
	s_mov_b64 s[26:27], 0
	s_and_saveexec_b64 s[0:1], s[22:23]
	s_cbranch_execz .LBB15_22
; %bb.19:
	v_mov_b32_e32 v9, 0
	v_and_b32_e32 v8, vcc_lo, v13
	v_cmp_ne_u64_e32 vcc, 0, v[8:9]
	s_mov_b64 s[6:7], 0
	s_and_saveexec_b64 s[22:23], vcc
	s_cbranch_execz .LBB15_21
; %bb.20:
	v_mov_b32_e32 v7, v9
	v_lshlrev_b64 v[10:11], 2, v[6:7]
	v_mov_b32_e32 v7, s13
	v_add_co_u32_e32 v10, vcc, s12, v10
	v_lshlrev_b64 v[14:15], 2, v[4:5]
	v_addc_co_u32_e32 v11, vcc, v7, v11, vcc
	v_mov_b32_e32 v5, s3
	v_add_co_u32_e32 v14, vcc, s2, v14
	v_addc_co_u32_e32 v15, vcc, v5, v15, vcc
	global_load_dword v5, v[14:15], off
	global_load_dword v7, v[10:11], off
	v_bcnt_u32_b32 v8, v8, 0
	v_mov_b32_e32 v12, s9
	s_mov_b64 s[6:7], exec
	v_mov_b32_e32 v14, s11
	s_xor_b64 s[24:25], exec, -1
	s_waitcnt vmcnt(1)
	v_add_u32_e32 v5, s28, v5
	s_waitcnt vmcnt(0)
	v_add3_u32 v8, v8, v7, -1
	v_lshlrev_b64 v[10:11], 4, v[8:9]
	v_lshlrev_b64 v[7:8], 2, v[8:9]
	v_add_co_u32_e32 v9, vcc, s8, v10
	v_addc_co_u32_e32 v10, vcc, v12, v11, vcc
	v_add_co_u32_e32 v7, vcc, s10, v7
	v_addc_co_u32_e32 v8, vcc, v14, v8, vcc
	global_store_dwordx4 v[9:10], v[0:3], off
	global_store_dword v[7:8], v5, off
.LBB15_21:
	s_or_b64 exec, exec, s[22:23]
	s_and_b64 s[26:27], s[24:25], exec
	s_orn2_b64 s[24:25], s[6:7], exec
.LBB15_22:
	s_or_b64 exec, exec, s[0:1]
	s_and_b64 s[6:7], s[26:27], exec
	s_orn2_b64 s[0:1], s[24:25], exec
	s_or_b64 exec, exec, s[20:21]
	s_and_saveexec_b64 s[20:21], s[0:1]
	s_cbranch_execz .LBB15_2
.LBB15_23:
	v_add_u32_e32 v0, 0x100, v4
	v_cmp_gt_i32_e32 vcc, s16, v0
	s_mov_b64 s[0:1], s[6:7]
	s_and_saveexec_b64 s[16:17], vcc
	s_cbranch_execz .LBB15_43
; %bb.24:
	v_ashrrev_i32_e32 v1, 31, v0
	v_lshlrev_b64 v[0:1], 4, v[0:1]
	v_mov_b32_e32 v2, s19
	v_add_co_u32_e32 v0, vcc, s18, v0
	v_addc_co_u32_e32 v1, vcc, v2, v1, vcc
	global_load_dwordx4 v[0:3], v[0:1], off glc slc
                                        ; implicit-def: $vgpr11_vgpr12
	s_waitcnt vmcnt(0)
	v_cmp_gt_f64_e32 vcc, 0, v[0:1]
	v_xor_b32_e32 v5, 0x80000000, v1
	v_xor_b32_e32 v9, 0x80000000, v3
	v_mov_b32_e32 v7, v0
	v_cndmask_b32_e32 v8, v1, v5, vcc
	v_cmp_gt_f64_e32 vcc, 0, v[2:3]
	v_cndmask_b32_e32 v10, v3, v9, vcc
	v_mov_b32_e32 v9, v2
	v_cmp_ngt_f64_e64 s[0:1], v[7:8], v[9:10]
	s_and_saveexec_b64 s[18:19], s[0:1]
	s_xor_b64 s[18:19], exec, s[18:19]
	s_cbranch_execz .LBB15_28
; %bb.25:
	v_cmp_neq_f64_e32 vcc, 0, v[2:3]
	v_mov_b32_e32 v11, 0
	v_mov_b32_e32 v12, 0
	s_and_saveexec_b64 s[22:23], vcc
	s_cbranch_execz .LBB15_27
; %bb.26:
	v_div_scale_f64 v[11:12], s[24:25], v[9:10], v[9:10], v[7:8]
	s_mov_b32 s24, 0
	s_brev_b32 s25, 8
	v_mov_b32_e32 v5, 0x100
	v_rcp_f64_e32 v[14:15], v[11:12]
	v_fma_f64 v[16:17], -v[11:12], v[14:15], 1.0
	v_fma_f64 v[14:15], v[14:15], v[16:17], v[14:15]
	v_div_scale_f64 v[16:17], vcc, v[7:8], v[9:10], v[7:8]
	v_fma_f64 v[18:19], -v[11:12], v[14:15], 1.0
	v_fma_f64 v[14:15], v[14:15], v[18:19], v[14:15]
	v_mul_f64 v[18:19], v[16:17], v[14:15]
	v_fma_f64 v[11:12], -v[11:12], v[18:19], v[16:17]
	v_div_fmas_f64 v[11:12], v[11:12], v[14:15], v[18:19]
	v_div_fixup_f64 v[11:12], v[11:12], v[9:10], v[7:8]
	v_fma_f64 v[11:12], v[11:12], v[11:12], 1.0
	v_cmp_gt_f64_e32 vcc, s[24:25], v[11:12]
	v_cndmask_b32_e32 v5, 0, v5, vcc
	v_ldexp_f64 v[11:12], v[11:12], v5
	v_mov_b32_e32 v5, 0xffffff80
	v_cndmask_b32_e32 v5, 0, v5, vcc
	v_rsq_f64_e32 v[14:15], v[11:12]
	v_mul_f64 v[16:17], v[11:12], v[14:15]
	v_mul_f64 v[14:15], v[14:15], 0.5
	v_fma_f64 v[18:19], -v[14:15], v[16:17], 0.5
	v_fma_f64 v[16:17], v[16:17], v[18:19], v[16:17]
	v_fma_f64 v[14:15], v[14:15], v[18:19], v[14:15]
	v_fma_f64 v[18:19], -v[16:17], v[16:17], v[11:12]
	v_fma_f64 v[16:17], v[18:19], v[14:15], v[16:17]
	v_fma_f64 v[18:19], -v[16:17], v[16:17], v[11:12]
	v_fma_f64 v[14:15], v[18:19], v[14:15], v[16:17]
	v_mov_b32_e32 v16, 0x260
	v_cmp_class_f64_e32 vcc, v[11:12], v16
	v_ldexp_f64 v[14:15], v[14:15], v5
	v_cndmask_b32_e32 v12, v15, v12, vcc
	v_cndmask_b32_e32 v11, v14, v11, vcc
	v_mul_f64 v[11:12], v[9:10], v[11:12]
.LBB15_27:
	s_or_b64 exec, exec, s[22:23]
.LBB15_28:
	s_andn2_saveexec_b64 s[18:19], s[18:19]
	s_cbranch_execz .LBB15_30
; %bb.29:
	v_div_scale_f64 v[11:12], s[22:23], v[7:8], v[7:8], v[9:10]
	s_mov_b32 s22, 0
	s_brev_b32 s23, 8
	v_mov_b32_e32 v5, 0x100
	v_rcp_f64_e32 v[14:15], v[11:12]
	v_fma_f64 v[16:17], -v[11:12], v[14:15], 1.0
	v_fma_f64 v[14:15], v[14:15], v[16:17], v[14:15]
	v_div_scale_f64 v[16:17], vcc, v[9:10], v[7:8], v[9:10]
	v_fma_f64 v[18:19], -v[11:12], v[14:15], 1.0
	v_fma_f64 v[14:15], v[14:15], v[18:19], v[14:15]
	v_mul_f64 v[18:19], v[16:17], v[14:15]
	v_fma_f64 v[11:12], -v[11:12], v[18:19], v[16:17]
	v_div_fmas_f64 v[11:12], v[11:12], v[14:15], v[18:19]
	v_div_fixup_f64 v[11:12], v[11:12], v[7:8], v[9:10]
	v_fma_f64 v[11:12], v[11:12], v[11:12], 1.0
	v_cmp_gt_f64_e32 vcc, s[22:23], v[11:12]
	v_cndmask_b32_e32 v5, 0, v5, vcc
	v_ldexp_f64 v[11:12], v[11:12], v5
	v_mov_b32_e32 v5, 0xffffff80
	v_cndmask_b32_e32 v5, 0, v5, vcc
	v_rsq_f64_e32 v[14:15], v[11:12]
	v_mul_f64 v[16:17], v[11:12], v[14:15]
	v_mul_f64 v[14:15], v[14:15], 0.5
	v_fma_f64 v[18:19], -v[14:15], v[16:17], 0.5
	v_fma_f64 v[16:17], v[16:17], v[18:19], v[16:17]
	v_fma_f64 v[14:15], v[14:15], v[18:19], v[14:15]
	v_fma_f64 v[18:19], -v[16:17], v[16:17], v[11:12]
	v_fma_f64 v[16:17], v[18:19], v[14:15], v[16:17]
	v_fma_f64 v[18:19], -v[16:17], v[16:17], v[11:12]
	v_fma_f64 v[14:15], v[18:19], v[14:15], v[16:17]
	v_mov_b32_e32 v16, 0x260
	v_cmp_class_f64_e32 vcc, v[11:12], v16
	v_ldexp_f64 v[14:15], v[14:15], v5
	v_cndmask_b32_e32 v12, v15, v12, vcc
	v_cndmask_b32_e32 v11, v14, v11, vcc
	v_mul_f64 v[11:12], v[7:8], v[11:12]
.LBB15_30:
	s_or_b64 exec, exec, s[18:19]
	v_cmp_lt_f64_e32 vcc, s[14:15], v[11:12]
	s_mov_b64 s[18:19], 0
	s_and_saveexec_b64 s[14:15], vcc
	s_cbranch_execz .LBB15_38
; %bb.31:
                                        ; implicit-def: $vgpr11_vgpr12
	s_and_saveexec_b64 s[18:19], s[0:1]
	s_xor_b64 s[0:1], exec, s[18:19]
	s_cbranch_execz .LBB15_35
; %bb.32:
	v_cmp_neq_f64_e32 vcc, 0, v[2:3]
	v_mov_b32_e32 v11, 0
	v_mov_b32_e32 v12, 0
	s_and_saveexec_b64 s[18:19], vcc
	s_cbranch_execz .LBB15_34
; %bb.33:
	v_div_scale_f64 v[11:12], s[22:23], v[9:10], v[9:10], v[7:8]
	s_mov_b32 s22, 0
	s_brev_b32 s23, 8
	v_mov_b32_e32 v5, 0x100
	v_rcp_f64_e32 v[14:15], v[11:12]
	v_fma_f64 v[16:17], -v[11:12], v[14:15], 1.0
	v_fma_f64 v[14:15], v[14:15], v[16:17], v[14:15]
	v_div_scale_f64 v[16:17], vcc, v[7:8], v[9:10], v[7:8]
	v_fma_f64 v[18:19], -v[11:12], v[14:15], 1.0
	v_fma_f64 v[14:15], v[14:15], v[18:19], v[14:15]
	v_mul_f64 v[18:19], v[16:17], v[14:15]
	v_fma_f64 v[11:12], -v[11:12], v[18:19], v[16:17]
	v_div_fmas_f64 v[11:12], v[11:12], v[14:15], v[18:19]
	v_div_fixup_f64 v[7:8], v[11:12], v[9:10], v[7:8]
	v_fma_f64 v[7:8], v[7:8], v[7:8], 1.0
	v_cmp_gt_f64_e32 vcc, s[22:23], v[7:8]
	v_cndmask_b32_e32 v5, 0, v5, vcc
	v_ldexp_f64 v[7:8], v[7:8], v5
	v_mov_b32_e32 v5, 0xffffff80
	v_cndmask_b32_e32 v5, 0, v5, vcc
	v_rsq_f64_e32 v[11:12], v[7:8]
	v_mul_f64 v[14:15], v[7:8], v[11:12]
	v_mul_f64 v[11:12], v[11:12], 0.5
	v_fma_f64 v[16:17], -v[11:12], v[14:15], 0.5
	v_fma_f64 v[14:15], v[14:15], v[16:17], v[14:15]
	v_fma_f64 v[11:12], v[11:12], v[16:17], v[11:12]
	v_fma_f64 v[16:17], -v[14:15], v[14:15], v[7:8]
	v_fma_f64 v[14:15], v[16:17], v[11:12], v[14:15]
	v_fma_f64 v[16:17], -v[14:15], v[14:15], v[7:8]
	v_fma_f64 v[11:12], v[16:17], v[11:12], v[14:15]
	v_mov_b32_e32 v14, 0x260
	v_cmp_class_f64_e32 vcc, v[7:8], v14
	v_ldexp_f64 v[11:12], v[11:12], v5
	v_cndmask_b32_e32 v8, v12, v8, vcc
	v_cndmask_b32_e32 v7, v11, v7, vcc
	v_mul_f64 v[11:12], v[9:10], v[7:8]
.LBB15_34:
	s_or_b64 exec, exec, s[18:19]
                                        ; implicit-def: $vgpr7_vgpr8
                                        ; implicit-def: $vgpr9_vgpr10
.LBB15_35:
	s_andn2_saveexec_b64 s[0:1], s[0:1]
	s_cbranch_execz .LBB15_37
; %bb.36:
	v_div_scale_f64 v[11:12], s[18:19], v[7:8], v[7:8], v[9:10]
	s_mov_b32 s18, 0
	s_brev_b32 s19, 8
	v_mov_b32_e32 v5, 0x100
	v_rcp_f64_e32 v[14:15], v[11:12]
	v_fma_f64 v[16:17], -v[11:12], v[14:15], 1.0
	v_fma_f64 v[14:15], v[14:15], v[16:17], v[14:15]
	v_div_scale_f64 v[16:17], vcc, v[9:10], v[7:8], v[9:10]
	v_fma_f64 v[18:19], -v[11:12], v[14:15], 1.0
	v_fma_f64 v[14:15], v[14:15], v[18:19], v[14:15]
	v_mul_f64 v[18:19], v[16:17], v[14:15]
	v_fma_f64 v[11:12], -v[11:12], v[18:19], v[16:17]
	v_div_fmas_f64 v[11:12], v[11:12], v[14:15], v[18:19]
	v_div_fixup_f64 v[9:10], v[11:12], v[7:8], v[9:10]
	v_fma_f64 v[9:10], v[9:10], v[9:10], 1.0
	v_cmp_gt_f64_e32 vcc, s[18:19], v[9:10]
	v_cndmask_b32_e32 v5, 0, v5, vcc
	v_ldexp_f64 v[9:10], v[9:10], v5
	v_mov_b32_e32 v5, 0xffffff80
	v_cndmask_b32_e32 v5, 0, v5, vcc
	v_rsq_f64_e32 v[11:12], v[9:10]
	v_mul_f64 v[14:15], v[9:10], v[11:12]
	v_mul_f64 v[11:12], v[11:12], 0.5
	v_fma_f64 v[16:17], -v[11:12], v[14:15], 0.5
	v_fma_f64 v[14:15], v[14:15], v[16:17], v[14:15]
	v_fma_f64 v[11:12], v[11:12], v[16:17], v[11:12]
	v_fma_f64 v[16:17], -v[14:15], v[14:15], v[9:10]
	v_fma_f64 v[14:15], v[16:17], v[11:12], v[14:15]
	v_fma_f64 v[16:17], -v[14:15], v[14:15], v[9:10]
	v_fma_f64 v[11:12], v[16:17], v[11:12], v[14:15]
	v_mov_b32_e32 v14, 0x260
	v_cmp_class_f64_e32 vcc, v[9:10], v14
	v_ldexp_f64 v[11:12], v[11:12], v5
	v_cndmask_b32_e32 v10, v12, v10, vcc
	v_cndmask_b32_e32 v9, v11, v9, vcc
	v_mul_f64 v[11:12], v[7:8], v[9:10]
.LBB15_37:
	s_or_b64 exec, exec, s[0:1]
	s_mov_b32 s0, 0
	s_mov_b32 s1, 0x38100000
	v_cmp_lt_f64_e32 vcc, s[0:1], v[11:12]
	s_and_b64 s[18:19], vcc, exec
.LBB15_38:
	s_or_b64 exec, exec, s[14:15]
	v_cndmask_b32_e64 v5, 0, 1, s[18:19]
	v_cmp_ne_u32_e32 vcc, 0, v5
	s_mov_b64 s[14:15], s[6:7]
	s_and_saveexec_b64 s[0:1], s[18:19]
	s_cbranch_execz .LBB15_42
; %bb.39:
	v_mov_b32_e32 v8, 0
	v_and_b32_e32 v7, vcc_lo, v13
	v_cmp_ne_u64_e32 vcc, 0, v[7:8]
	s_mov_b64 s[18:19], -1
	s_and_saveexec_b64 s[14:15], vcc
	s_xor_b64 s[14:15], exec, s[14:15]
	s_cbranch_execz .LBB15_41
; %bb.40:
	v_bcnt_u32_b32 v9, v7, 0
	v_add_u32_e32 v7, 8, v6
	v_lshlrev_b64 v[5:6], 2, v[7:8]
	v_mov_b32_e32 v7, s13
	v_add_co_u32_e32 v5, vcc, s12, v5
	v_addc_co_u32_e32 v6, vcc, v7, v6, vcc
	global_load_dword v6, v[5:6], off
	v_ashrrev_i32_e32 v5, 31, v4
	v_lshlrev_b64 v[4:5], 2, v[4:5]
	v_mov_b32_e32 v7, s3
	v_add_co_u32_e32 v4, vcc, s2, v4
	v_addc_co_u32_e32 v5, vcc, v7, v5, vcc
	global_load_dword v4, v[4:5], off offset:1024
	v_mov_b32_e32 v10, s9
	v_mov_b32_e32 v11, s11
	s_xor_b64 s[18:19], exec, -1
	s_waitcnt vmcnt(1)
	v_add3_u32 v7, v9, v6, -1
	s_waitcnt vmcnt(0)
	v_add_u32_e32 v9, s28, v4
	v_lshlrev_b64 v[4:5], 4, v[7:8]
	v_lshlrev_b64 v[6:7], 2, v[7:8]
	v_add_co_u32_e32 v4, vcc, s8, v4
	v_addc_co_u32_e32 v5, vcc, v10, v5, vcc
	v_add_co_u32_e32 v6, vcc, s10, v6
	v_addc_co_u32_e32 v7, vcc, v11, v7, vcc
	global_store_dwordx4 v[4:5], v[0:3], off
	global_store_dword v[6:7], v9, off
.LBB15_41:
	s_or_b64 exec, exec, s[14:15]
	s_andn2_b64 s[2:3], s[6:7], exec
	s_and_b64 s[8:9], s[18:19], exec
	s_or_b64 s[14:15], s[2:3], s[8:9]
.LBB15_42:
	s_or_b64 exec, exec, s[0:1]
	s_andn2_b64 s[0:1], s[6:7], exec
	s_and_b64 s[2:3], s[14:15], exec
	s_or_b64 s[0:1], s[0:1], s[2:3]
.LBB15_43:
	s_or_b64 exec, exec, s[16:17]
	s_andn2_b64 s[2:3], s[6:7], exec
	s_and_b64 s[0:1], s[0:1], exec
	s_or_b64 s[6:7], s[2:3], s[0:1]
	s_or_b64 exec, exec, s[20:21]
	s_and_saveexec_b64 s[0:1], s[6:7]
	s_xor_b64 s[0:1], exec, s[0:1]
	s_cbranch_execz .LBB15_3
.LBB15_44:
	s_load_dwordx2 s[2:3], s[4:5], 0x98
	v_mbcnt_lo_u32_b32 v0, -1, 0
	v_mbcnt_hi_u32_b32 v32, -1, v0
	v_readfirstlane_b32 s0, v32
	v_mov_b32_e32 v5, 0
	v_mov_b32_e32 v6, 0
	v_cmp_eq_u32_e64 s[0:1], s0, v32
	s_and_saveexec_b64 s[4:5], s[0:1]
	s_cbranch_execz .LBB15_50
; %bb.45:
	v_mov_b32_e32 v0, 0
	s_waitcnt lgkmcnt(0)
	global_load_dwordx2 v[3:4], v0, s[2:3] offset:24 glc
	s_waitcnt vmcnt(0)
	buffer_wbinvl1_vol
	global_load_dwordx2 v[1:2], v0, s[2:3] offset:40
	global_load_dwordx2 v[5:6], v0, s[2:3]
	s_waitcnt vmcnt(1)
	v_and_b32_e32 v1, v1, v3
	v_and_b32_e32 v2, v2, v4
	v_mul_lo_u32 v2, v2, 24
	v_mul_hi_u32 v7, v1, 24
	v_mul_lo_u32 v1, v1, 24
	v_add_u32_e32 v2, v7, v2
	s_waitcnt vmcnt(0)
	v_add_co_u32_e32 v1, vcc, v5, v1
	v_addc_co_u32_e32 v2, vcc, v6, v2, vcc
	global_load_dwordx2 v[1:2], v[1:2], off glc
	s_waitcnt vmcnt(0)
	global_atomic_cmpswap_x2 v[5:6], v0, v[1:4], s[2:3] offset:24 glc
	s_waitcnt vmcnt(0)
	buffer_wbinvl1_vol
	v_cmp_ne_u64_e32 vcc, v[5:6], v[3:4]
	s_and_saveexec_b64 s[6:7], vcc
	s_cbranch_execz .LBB15_49
; %bb.46:
	s_mov_b64 s[8:9], 0
.LBB15_47:                              ; =>This Inner Loop Header: Depth=1
	s_sleep 1
	global_load_dwordx2 v[1:2], v0, s[2:3] offset:40
	global_load_dwordx2 v[7:8], v0, s[2:3]
	v_mov_b32_e32 v3, v5
	v_mov_b32_e32 v4, v6
	s_waitcnt vmcnt(1)
	v_and_b32_e32 v1, v1, v3
	s_waitcnt vmcnt(0)
	v_mad_u64_u32 v[5:6], s[10:11], v1, 24, v[7:8]
	v_and_b32_e32 v2, v2, v4
	v_mov_b32_e32 v1, v6
	v_mad_u64_u32 v[1:2], s[10:11], v2, 24, v[1:2]
	v_mov_b32_e32 v6, v1
	global_load_dwordx2 v[1:2], v[5:6], off glc
	s_waitcnt vmcnt(0)
	global_atomic_cmpswap_x2 v[5:6], v0, v[1:4], s[2:3] offset:24 glc
	s_waitcnt vmcnt(0)
	buffer_wbinvl1_vol
	v_cmp_eq_u64_e32 vcc, v[5:6], v[3:4]
	s_or_b64 s[8:9], vcc, s[8:9]
	s_andn2_b64 exec, exec, s[8:9]
	s_cbranch_execnz .LBB15_47
; %bb.48:
	s_or_b64 exec, exec, s[8:9]
.LBB15_49:
	s_or_b64 exec, exec, s[6:7]
.LBB15_50:
	s_or_b64 exec, exec, s[4:5]
	v_mov_b32_e32 v4, 0
	s_waitcnt lgkmcnt(0)
	global_load_dwordx2 v[7:8], v4, s[2:3] offset:40
	global_load_dwordx4 v[0:3], v4, s[2:3]
	v_readfirstlane_b32 s5, v6
	v_readfirstlane_b32 s4, v5
	s_mov_b64 s[6:7], exec
	s_waitcnt vmcnt(1)
	v_readfirstlane_b32 s8, v7
	v_readfirstlane_b32 s9, v8
	s_and_b64 s[8:9], s[8:9], s[4:5]
	s_mul_i32 s10, s9, 24
	s_mul_hi_u32 s11, s8, 24
	s_mul_i32 s12, s8, 24
	s_add_i32 s10, s11, s10
	v_mov_b32_e32 v5, s10
	s_waitcnt vmcnt(0)
	v_add_co_u32_e32 v7, vcc, s12, v0
	v_addc_co_u32_e32 v8, vcc, v1, v5, vcc
	s_and_saveexec_b64 s[10:11], s[0:1]
	s_cbranch_execz .LBB15_52
; %bb.51:
	v_mov_b32_e32 v10, s7
	v_mov_b32_e32 v9, s6
	;; [unrolled: 1-line block ×4, first 2 shown]
	global_store_dwordx4 v[7:8], v[9:12], off offset:8
.LBB15_52:
	s_or_b64 exec, exec, s[10:11]
	s_lshl_b64 s[6:7], s[8:9], 12
	v_mov_b32_e32 v5, s7
	v_add_co_u32_e32 v2, vcc, s6, v2
	v_addc_co_u32_e32 v11, vcc, v3, v5, vcc
	v_lshlrev_b32_e32 v31, 6, v32
	s_mov_b32 s8, 0
	v_mov_b32_e32 v3, 33
	v_mov_b32_e32 v5, v4
	;; [unrolled: 1-line block ×3, first 2 shown]
	v_readfirstlane_b32 s6, v2
	v_readfirstlane_b32 s7, v11
	v_add_co_u32_e32 v9, vcc, v2, v31
	s_mov_b32 s9, s8
	s_mov_b32 s10, s8
	;; [unrolled: 1-line block ×3, first 2 shown]
	s_nop 0
	global_store_dwordx4 v31, v[3:6], s[6:7]
	v_mov_b32_e32 v2, s8
	v_addc_co_u32_e32 v10, vcc, 0, v11, vcc
	v_mov_b32_e32 v3, s9
	v_mov_b32_e32 v4, s10
	;; [unrolled: 1-line block ×3, first 2 shown]
	global_store_dwordx4 v31, v[2:5], s[6:7] offset:16
	global_store_dwordx4 v31, v[2:5], s[6:7] offset:32
	;; [unrolled: 1-line block ×3, first 2 shown]
	s_and_saveexec_b64 s[6:7], s[0:1]
	s_cbranch_execz .LBB15_60
; %bb.53:
	v_mov_b32_e32 v6, 0
	global_load_dwordx2 v[13:14], v6, s[2:3] offset:32 glc
	global_load_dwordx2 v[2:3], v6, s[2:3] offset:40
	v_mov_b32_e32 v11, s4
	v_mov_b32_e32 v12, s5
	s_waitcnt vmcnt(0)
	v_and_b32_e32 v2, s4, v2
	v_and_b32_e32 v3, s5, v3
	v_mul_lo_u32 v3, v3, 24
	v_mul_hi_u32 v4, v2, 24
	v_mul_lo_u32 v2, v2, 24
	v_add_u32_e32 v3, v4, v3
	v_add_co_u32_e32 v4, vcc, v0, v2
	v_addc_co_u32_e32 v5, vcc, v1, v3, vcc
	global_store_dwordx2 v[4:5], v[13:14], off
	s_waitcnt vmcnt(0)
	global_atomic_cmpswap_x2 v[2:3], v6, v[11:14], s[2:3] offset:32 glc
	s_waitcnt vmcnt(0)
	v_cmp_ne_u64_e32 vcc, v[2:3], v[13:14]
	s_and_saveexec_b64 s[8:9], vcc
	s_cbranch_execz .LBB15_56
; %bb.54:
	s_mov_b64 s[10:11], 0
.LBB15_55:                              ; =>This Inner Loop Header: Depth=1
	s_sleep 1
	global_store_dwordx2 v[4:5], v[2:3], off
	v_mov_b32_e32 v0, s4
	v_mov_b32_e32 v1, s5
	s_waitcnt vmcnt(0)
	global_atomic_cmpswap_x2 v[0:1], v6, v[0:3], s[2:3] offset:32 glc
	s_waitcnt vmcnt(0)
	v_cmp_eq_u64_e32 vcc, v[0:1], v[2:3]
	v_mov_b32_e32 v3, v1
	s_or_b64 s[10:11], vcc, s[10:11]
	v_mov_b32_e32 v2, v0
	s_andn2_b64 exec, exec, s[10:11]
	s_cbranch_execnz .LBB15_55
.LBB15_56:
	s_or_b64 exec, exec, s[8:9]
	v_mov_b32_e32 v3, 0
	global_load_dwordx2 v[0:1], v3, s[2:3] offset:16
	s_mov_b64 s[8:9], exec
	v_mbcnt_lo_u32_b32 v2, s8, 0
	v_mbcnt_hi_u32_b32 v2, s9, v2
	v_cmp_eq_u32_e32 vcc, 0, v2
	s_and_saveexec_b64 s[10:11], vcc
	s_cbranch_execz .LBB15_58
; %bb.57:
	s_bcnt1_i32_b64 s8, s[8:9]
	v_mov_b32_e32 v2, s8
	s_waitcnt vmcnt(0)
	global_atomic_add_x2 v[0:1], v[2:3], off offset:8
.LBB15_58:
	s_or_b64 exec, exec, s[10:11]
	s_waitcnt vmcnt(0)
	global_load_dwordx2 v[2:3], v[0:1], off offset:16
	s_waitcnt vmcnt(0)
	v_cmp_eq_u64_e32 vcc, 0, v[2:3]
	s_cbranch_vccnz .LBB15_60
; %bb.59:
	global_load_dword v0, v[0:1], off offset:24
	v_mov_b32_e32 v1, 0
	s_waitcnt vmcnt(0)
	v_readfirstlane_b32 s8, v0
	s_and_b32 m0, s8, 0xffffff
	global_store_dwordx2 v[2:3], v[0:1], off
	s_sendmsg sendmsg(MSG_INTERRUPT)
.LBB15_60:
	s_or_b64 exec, exec, s[6:7]
	s_branch .LBB15_64
.LBB15_61:                              ;   in Loop: Header=BB15_64 Depth=1
	s_or_b64 exec, exec, s[6:7]
	v_readfirstlane_b32 s6, v0
	s_cmp_eq_u32 s6, 0
	s_cbranch_scc1 .LBB15_63
; %bb.62:                               ;   in Loop: Header=BB15_64 Depth=1
	s_sleep 1
	s_cbranch_execnz .LBB15_64
	s_branch .LBB15_66
.LBB15_63:
	s_branch .LBB15_66
.LBB15_64:                              ; =>This Inner Loop Header: Depth=1
	v_mov_b32_e32 v0, 1
	s_and_saveexec_b64 s[6:7], s[0:1]
	s_cbranch_execz .LBB15_61
; %bb.65:                               ;   in Loop: Header=BB15_64 Depth=1
	global_load_dword v0, v[7:8], off offset:20 glc
	s_waitcnt vmcnt(0)
	buffer_wbinvl1_vol
	v_and_b32_e32 v0, 1, v0
	s_branch .LBB15_61
.LBB15_66:
	global_load_dwordx2 v[0:1], v[9:10], off
	s_and_saveexec_b64 s[6:7], s[0:1]
	s_cbranch_execz .LBB15_69
; %bb.67:
	v_mov_b32_e32 v8, 0
	global_load_dwordx2 v[2:3], v8, s[2:3] offset:40
	global_load_dwordx2 v[11:12], v8, s[2:3] offset:24 glc
	global_load_dwordx2 v[4:5], v8, s[2:3]
	s_waitcnt vmcnt(2)
	v_readfirstlane_b32 s8, v2
	v_readfirstlane_b32 s9, v3
	s_add_u32 s10, s8, 1
	s_addc_u32 s11, s9, 0
	s_add_u32 s0, s10, s4
	s_addc_u32 s1, s11, s5
	s_cmp_eq_u64 s[0:1], 0
	s_cselect_b32 s1, s11, s1
	s_cselect_b32 s0, s10, s0
	s_and_b64 s[4:5], s[0:1], s[8:9]
	s_mul_i32 s5, s5, 24
	s_mul_hi_u32 s8, s4, 24
	s_mul_i32 s4, s4, 24
	s_add_i32 s5, s8, s5
	v_mov_b32_e32 v2, s5
	s_waitcnt vmcnt(0)
	v_add_co_u32_e32 v6, vcc, s4, v4
	v_addc_co_u32_e32 v7, vcc, v5, v2, vcc
	v_mov_b32_e32 v9, s0
	global_store_dwordx2 v[6:7], v[11:12], off
	v_mov_b32_e32 v10, s1
	s_waitcnt vmcnt(0)
	global_atomic_cmpswap_x2 v[4:5], v8, v[9:12], s[2:3] offset:24 glc
	s_mov_b64 s[4:5], 0
	s_waitcnt vmcnt(0)
	v_cmp_ne_u64_e32 vcc, v[4:5], v[11:12]
	s_and_b64 exec, exec, vcc
	s_cbranch_execz .LBB15_69
.LBB15_68:                              ; =>This Inner Loop Header: Depth=1
	s_sleep 1
	global_store_dwordx2 v[6:7], v[4:5], off
	v_mov_b32_e32 v2, s0
	v_mov_b32_e32 v3, s1
	s_waitcnt vmcnt(0)
	global_atomic_cmpswap_x2 v[2:3], v8, v[2:5], s[2:3] offset:24 glc
	s_waitcnt vmcnt(0)
	v_cmp_eq_u64_e32 vcc, v[2:3], v[4:5]
	v_mov_b32_e32 v5, v3
	s_or_b64 s[4:5], vcc, s[4:5]
	v_mov_b32_e32 v4, v2
	s_andn2_b64 exec, exec, s[4:5]
	s_cbranch_execnz .LBB15_68
.LBB15_69:
	s_or_b64 exec, exec, s[6:7]
	s_getpc_b64 s[4:5]
	s_add_u32 s4, s4, .str.2@rel32@lo+4
	s_addc_u32 s5, s5, .str.2@rel32@hi+12
	s_cmp_lg_u64 s[4:5], 0
	s_cselect_b64 s[0:1], -1, 0
	s_cmp_eq_u64 s[4:5], 0
	s_mov_b64 s[4:5], 0
	s_cbranch_scc1 .LBB15_73
; %bb.70:
	v_mov_b32_e32 v2, 0
	s_getpc_b64 s[4:5]
	s_add_u32 s4, s4, .str.2@rel32@lo+3
	s_addc_u32 s5, s5, .str.2@rel32@hi+11
.LBB15_71:                              ; =>This Inner Loop Header: Depth=1
	global_load_ubyte v3, v2, s[4:5] offset:1
	s_add_u32 s6, s4, 1
	s_addc_u32 s7, s5, 0
	s_mov_b64 s[4:5], s[6:7]
	s_waitcnt vmcnt(0)
	v_cmp_ne_u32_e32 vcc, 0, v3
	s_cbranch_vccnz .LBB15_71
; %bb.72:
	s_getpc_b64 s[4:5]
	s_add_u32 s4, s4, .str.2@rel32@lo+4
	s_addc_u32 s5, s5, .str.2@rel32@hi+12
	s_sub_u32 s4, s6, s4
	s_subb_u32 s5, s7, s5
	s_add_u32 s4, s4, 1
	s_addc_u32 s5, s5, 0
.LBB15_73:
	s_and_b64 vcc, exec, s[0:1]
	s_cbranch_vccz .LBB15_158
; %bb.74:
	s_waitcnt vmcnt(0)
	v_and_b32_e32 v33, 2, v0
	v_mov_b32_e32 v28, 0
	v_and_b32_e32 v4, -3, v0
	v_mov_b32_e32 v5, v1
	v_mov_b32_e32 v10, 2
	;; [unrolled: 1-line block ×3, first 2 shown]
	s_getpc_b64 s[6:7]
	s_add_u32 s6, s6, .str.2@rel32@lo+4
	s_addc_u32 s7, s7, .str.2@rel32@hi+12
	s_branch .LBB15_76
.LBB15_75:                              ;   in Loop: Header=BB15_76 Depth=1
	s_or_b64 exec, exec, s[12:13]
	s_sub_u32 s4, s4, s8
	s_subb_u32 s5, s5, s9
	s_add_u32 s6, s6, s8
	s_addc_u32 s7, s7, s9
	s_cmp_lg_u64 s[4:5], 0
	s_cbranch_scc0 .LBB15_159
.LBB15_76:                              ; =>This Loop Header: Depth=1
                                        ;     Child Loop BB15_79 Depth 2
                                        ;     Child Loop BB15_87 Depth 2
	;; [unrolled: 1-line block ×11, first 2 shown]
	v_cmp_lt_u64_e64 s[0:1], s[4:5], 56
	v_cmp_gt_u64_e64 s[10:11], s[4:5], 7
	s_and_b64 s[0:1], s[0:1], exec
	s_cselect_b32 s9, s5, 0
	s_cselect_b32 s8, s4, 56
	s_add_u32 s0, s6, 8
	s_addc_u32 s1, s7, 0
	s_and_b64 vcc, exec, s[10:11]
	s_cbranch_vccnz .LBB15_80
; %bb.77:                               ;   in Loop: Header=BB15_76 Depth=1
	s_cmp_eq_u64 s[4:5], 0
	s_cbranch_scc1 .LBB15_81
; %bb.78:                               ;   in Loop: Header=BB15_76 Depth=1
	v_mov_b32_e32 v6, 0
	s_lshl_b64 s[0:1], s[8:9], 3
	s_mov_b64 s[10:11], 0
	v_mov_b32_e32 v7, 0
	s_mov_b64 s[12:13], s[6:7]
.LBB15_79:                              ;   Parent Loop BB15_76 Depth=1
                                        ; =>  This Inner Loop Header: Depth=2
	global_load_ubyte v2, v28, s[12:13]
	s_waitcnt vmcnt(0)
	v_and_b32_e32 v27, 0xffff, v2
	v_lshlrev_b64 v[2:3], s10, v[27:28]
	s_add_u32 s10, s10, 8
	s_addc_u32 s11, s11, 0
	s_add_u32 s12, s12, 1
	s_addc_u32 s13, s13, 0
	v_or_b32_e32 v6, v2, v6
	s_cmp_lg_u32 s0, s10
	v_or_b32_e32 v7, v3, v7
	s_cbranch_scc1 .LBB15_79
	s_branch .LBB15_82
.LBB15_80:                              ;   in Loop: Header=BB15_76 Depth=1
	s_mov_b32 s14, 0
	s_branch .LBB15_83
.LBB15_81:                              ;   in Loop: Header=BB15_76 Depth=1
	v_mov_b32_e32 v6, 0
	v_mov_b32_e32 v7, 0
.LBB15_82:                              ;   in Loop: Header=BB15_76 Depth=1
	s_mov_b64 s[0:1], s[6:7]
	s_mov_b32 s14, 0
	s_cbranch_execnz .LBB15_84
.LBB15_83:                              ;   in Loop: Header=BB15_76 Depth=1
	global_load_dwordx2 v[6:7], v28, s[6:7]
	s_add_i32 s14, s8, -8
.LBB15_84:                              ;   in Loop: Header=BB15_76 Depth=1
	s_add_u32 s10, s0, 8
	s_addc_u32 s11, s1, 0
	s_cmp_gt_u32 s14, 7
	s_cbranch_scc1 .LBB15_88
; %bb.85:                               ;   in Loop: Header=BB15_76 Depth=1
	s_cmp_eq_u32 s14, 0
	s_cbranch_scc1 .LBB15_89
; %bb.86:                               ;   in Loop: Header=BB15_76 Depth=1
	v_mov_b32_e32 v12, 0
	s_mov_b64 s[10:11], 0
	v_mov_b32_e32 v13, 0
	s_mov_b64 s[12:13], 0
.LBB15_87:                              ;   Parent Loop BB15_76 Depth=1
                                        ; =>  This Inner Loop Header: Depth=2
	s_add_u32 s16, s0, s12
	s_addc_u32 s17, s1, s13
	global_load_ubyte v2, v28, s[16:17]
	s_add_u32 s12, s12, 1
	s_addc_u32 s13, s13, 0
	s_waitcnt vmcnt(0)
	v_and_b32_e32 v27, 0xffff, v2
	v_lshlrev_b64 v[2:3], s10, v[27:28]
	s_add_u32 s10, s10, 8
	s_addc_u32 s11, s11, 0
	v_or_b32_e32 v12, v2, v12
	s_cmp_lg_u32 s14, s12
	v_or_b32_e32 v13, v3, v13
	s_cbranch_scc1 .LBB15_87
	s_branch .LBB15_90
.LBB15_88:                              ;   in Loop: Header=BB15_76 Depth=1
                                        ; implicit-def: $vgpr12_vgpr13
	s_mov_b32 s15, 0
	s_branch .LBB15_91
.LBB15_89:                              ;   in Loop: Header=BB15_76 Depth=1
	v_mov_b32_e32 v12, 0
	v_mov_b32_e32 v13, 0
.LBB15_90:                              ;   in Loop: Header=BB15_76 Depth=1
	s_mov_b64 s[10:11], s[0:1]
	s_mov_b32 s15, 0
	s_cbranch_execnz .LBB15_92
.LBB15_91:                              ;   in Loop: Header=BB15_76 Depth=1
	global_load_dwordx2 v[12:13], v28, s[0:1]
	s_add_i32 s15, s14, -8
.LBB15_92:                              ;   in Loop: Header=BB15_76 Depth=1
	s_add_u32 s0, s10, 8
	s_addc_u32 s1, s11, 0
	s_cmp_gt_u32 s15, 7
	s_cbranch_scc1 .LBB15_96
; %bb.93:                               ;   in Loop: Header=BB15_76 Depth=1
	s_cmp_eq_u32 s15, 0
	s_cbranch_scc1 .LBB15_97
; %bb.94:                               ;   in Loop: Header=BB15_76 Depth=1
	v_mov_b32_e32 v14, 0
	s_mov_b64 s[0:1], 0
	v_mov_b32_e32 v15, 0
	s_mov_b64 s[12:13], 0
.LBB15_95:                              ;   Parent Loop BB15_76 Depth=1
                                        ; =>  This Inner Loop Header: Depth=2
	s_add_u32 s16, s10, s12
	s_addc_u32 s17, s11, s13
	global_load_ubyte v2, v28, s[16:17]
	s_add_u32 s12, s12, 1
	s_addc_u32 s13, s13, 0
	s_waitcnt vmcnt(0)
	v_and_b32_e32 v27, 0xffff, v2
	v_lshlrev_b64 v[2:3], s0, v[27:28]
	s_add_u32 s0, s0, 8
	s_addc_u32 s1, s1, 0
	v_or_b32_e32 v14, v2, v14
	s_cmp_lg_u32 s15, s12
	v_or_b32_e32 v15, v3, v15
	s_cbranch_scc1 .LBB15_95
	s_branch .LBB15_98
.LBB15_96:                              ;   in Loop: Header=BB15_76 Depth=1
	s_mov_b32 s14, 0
	s_branch .LBB15_99
.LBB15_97:                              ;   in Loop: Header=BB15_76 Depth=1
	v_mov_b32_e32 v14, 0
	v_mov_b32_e32 v15, 0
.LBB15_98:                              ;   in Loop: Header=BB15_76 Depth=1
	s_mov_b64 s[0:1], s[10:11]
	s_mov_b32 s14, 0
	s_cbranch_execnz .LBB15_100
.LBB15_99:                              ;   in Loop: Header=BB15_76 Depth=1
	global_load_dwordx2 v[14:15], v28, s[10:11]
	s_add_i32 s14, s15, -8
.LBB15_100:                             ;   in Loop: Header=BB15_76 Depth=1
	s_add_u32 s10, s0, 8
	s_addc_u32 s11, s1, 0
	s_cmp_gt_u32 s14, 7
	s_cbranch_scc1 .LBB15_104
; %bb.101:                              ;   in Loop: Header=BB15_76 Depth=1
	s_cmp_eq_u32 s14, 0
	s_cbranch_scc1 .LBB15_105
; %bb.102:                              ;   in Loop: Header=BB15_76 Depth=1
	v_mov_b32_e32 v16, 0
	s_mov_b64 s[10:11], 0
	v_mov_b32_e32 v17, 0
	s_mov_b64 s[12:13], 0
.LBB15_103:                             ;   Parent Loop BB15_76 Depth=1
                                        ; =>  This Inner Loop Header: Depth=2
	s_add_u32 s16, s0, s12
	s_addc_u32 s17, s1, s13
	global_load_ubyte v2, v28, s[16:17]
	s_add_u32 s12, s12, 1
	s_addc_u32 s13, s13, 0
	s_waitcnt vmcnt(0)
	v_and_b32_e32 v27, 0xffff, v2
	v_lshlrev_b64 v[2:3], s10, v[27:28]
	s_add_u32 s10, s10, 8
	s_addc_u32 s11, s11, 0
	v_or_b32_e32 v16, v2, v16
	s_cmp_lg_u32 s14, s12
	v_or_b32_e32 v17, v3, v17
	s_cbranch_scc1 .LBB15_103
	s_branch .LBB15_106
.LBB15_104:                             ;   in Loop: Header=BB15_76 Depth=1
                                        ; implicit-def: $vgpr16_vgpr17
	s_mov_b32 s15, 0
	s_branch .LBB15_107
.LBB15_105:                             ;   in Loop: Header=BB15_76 Depth=1
	v_mov_b32_e32 v16, 0
	v_mov_b32_e32 v17, 0
.LBB15_106:                             ;   in Loop: Header=BB15_76 Depth=1
	s_mov_b64 s[10:11], s[0:1]
	s_mov_b32 s15, 0
	s_cbranch_execnz .LBB15_108
.LBB15_107:                             ;   in Loop: Header=BB15_76 Depth=1
	global_load_dwordx2 v[16:17], v28, s[0:1]
	s_add_i32 s15, s14, -8
.LBB15_108:                             ;   in Loop: Header=BB15_76 Depth=1
	s_add_u32 s0, s10, 8
	s_addc_u32 s1, s11, 0
	s_cmp_gt_u32 s15, 7
	s_cbranch_scc1 .LBB15_112
; %bb.109:                              ;   in Loop: Header=BB15_76 Depth=1
	s_cmp_eq_u32 s15, 0
	s_cbranch_scc1 .LBB15_113
; %bb.110:                              ;   in Loop: Header=BB15_76 Depth=1
	v_mov_b32_e32 v18, 0
	s_mov_b64 s[0:1], 0
	v_mov_b32_e32 v19, 0
	s_mov_b64 s[12:13], 0
.LBB15_111:                             ;   Parent Loop BB15_76 Depth=1
                                        ; =>  This Inner Loop Header: Depth=2
	s_add_u32 s16, s10, s12
	s_addc_u32 s17, s11, s13
	global_load_ubyte v2, v28, s[16:17]
	s_add_u32 s12, s12, 1
	s_addc_u32 s13, s13, 0
	s_waitcnt vmcnt(0)
	v_and_b32_e32 v27, 0xffff, v2
	v_lshlrev_b64 v[2:3], s0, v[27:28]
	s_add_u32 s0, s0, 8
	s_addc_u32 s1, s1, 0
	v_or_b32_e32 v18, v2, v18
	s_cmp_lg_u32 s15, s12
	v_or_b32_e32 v19, v3, v19
	s_cbranch_scc1 .LBB15_111
	s_branch .LBB15_114
.LBB15_112:                             ;   in Loop: Header=BB15_76 Depth=1
	s_mov_b32 s14, 0
	s_branch .LBB15_115
.LBB15_113:                             ;   in Loop: Header=BB15_76 Depth=1
	v_mov_b32_e32 v18, 0
	v_mov_b32_e32 v19, 0
.LBB15_114:                             ;   in Loop: Header=BB15_76 Depth=1
	s_mov_b64 s[0:1], s[10:11]
	s_mov_b32 s14, 0
	s_cbranch_execnz .LBB15_116
.LBB15_115:                             ;   in Loop: Header=BB15_76 Depth=1
	global_load_dwordx2 v[18:19], v28, s[10:11]
	s_add_i32 s14, s15, -8
.LBB15_116:                             ;   in Loop: Header=BB15_76 Depth=1
	s_add_u32 s10, s0, 8
	s_addc_u32 s11, s1, 0
	s_cmp_gt_u32 s14, 7
	s_cbranch_scc1 .LBB15_120
; %bb.117:                              ;   in Loop: Header=BB15_76 Depth=1
	s_cmp_eq_u32 s14, 0
	s_cbranch_scc1 .LBB15_121
; %bb.118:                              ;   in Loop: Header=BB15_76 Depth=1
	v_mov_b32_e32 v20, 0
	s_mov_b64 s[10:11], 0
	v_mov_b32_e32 v21, 0
	s_mov_b64 s[12:13], 0
.LBB15_119:                             ;   Parent Loop BB15_76 Depth=1
                                        ; =>  This Inner Loop Header: Depth=2
	s_add_u32 s16, s0, s12
	s_addc_u32 s17, s1, s13
	global_load_ubyte v2, v28, s[16:17]
	s_add_u32 s12, s12, 1
	s_addc_u32 s13, s13, 0
	s_waitcnt vmcnt(0)
	v_and_b32_e32 v27, 0xffff, v2
	v_lshlrev_b64 v[2:3], s10, v[27:28]
	s_add_u32 s10, s10, 8
	s_addc_u32 s11, s11, 0
	v_or_b32_e32 v20, v2, v20
	s_cmp_lg_u32 s14, s12
	v_or_b32_e32 v21, v3, v21
	s_cbranch_scc1 .LBB15_119
	s_branch .LBB15_122
.LBB15_120:                             ;   in Loop: Header=BB15_76 Depth=1
                                        ; implicit-def: $vgpr20_vgpr21
	s_mov_b32 s15, 0
	s_branch .LBB15_123
.LBB15_121:                             ;   in Loop: Header=BB15_76 Depth=1
	v_mov_b32_e32 v20, 0
	v_mov_b32_e32 v21, 0
.LBB15_122:                             ;   in Loop: Header=BB15_76 Depth=1
	s_mov_b64 s[10:11], s[0:1]
	s_mov_b32 s15, 0
	s_cbranch_execnz .LBB15_124
.LBB15_123:                             ;   in Loop: Header=BB15_76 Depth=1
	global_load_dwordx2 v[20:21], v28, s[0:1]
	s_add_i32 s15, s14, -8
.LBB15_124:                             ;   in Loop: Header=BB15_76 Depth=1
	s_cmp_gt_u32 s15, 7
	s_cbranch_scc1 .LBB15_128
; %bb.125:                              ;   in Loop: Header=BB15_76 Depth=1
	s_cmp_eq_u32 s15, 0
	s_cbranch_scc1 .LBB15_129
; %bb.126:                              ;   in Loop: Header=BB15_76 Depth=1
	v_mov_b32_e32 v22, 0
	s_mov_b64 s[0:1], 0
	v_mov_b32_e32 v23, 0
	s_mov_b64 s[12:13], s[10:11]
.LBB15_127:                             ;   Parent Loop BB15_76 Depth=1
                                        ; =>  This Inner Loop Header: Depth=2
	global_load_ubyte v2, v28, s[12:13]
	s_add_i32 s15, s15, -1
	s_waitcnt vmcnt(0)
	v_and_b32_e32 v27, 0xffff, v2
	v_lshlrev_b64 v[2:3], s0, v[27:28]
	s_add_u32 s0, s0, 8
	s_addc_u32 s1, s1, 0
	s_add_u32 s12, s12, 1
	s_addc_u32 s13, s13, 0
	v_or_b32_e32 v22, v2, v22
	s_cmp_lg_u32 s15, 0
	v_or_b32_e32 v23, v3, v23
	s_cbranch_scc1 .LBB15_127
	s_branch .LBB15_130
.LBB15_128:                             ;   in Loop: Header=BB15_76 Depth=1
	s_branch .LBB15_131
.LBB15_129:                             ;   in Loop: Header=BB15_76 Depth=1
	v_mov_b32_e32 v22, 0
	v_mov_b32_e32 v23, 0
.LBB15_130:                             ;   in Loop: Header=BB15_76 Depth=1
	s_cbranch_execnz .LBB15_132
.LBB15_131:                             ;   in Loop: Header=BB15_76 Depth=1
	global_load_dwordx2 v[22:23], v28, s[10:11]
.LBB15_132:                             ;   in Loop: Header=BB15_76 Depth=1
	v_readfirstlane_b32 s0, v32
	v_mov_b32_e32 v2, 0
	v_mov_b32_e32 v3, 0
	v_cmp_eq_u32_e64 s[0:1], s0, v32
	s_and_saveexec_b64 s[10:11], s[0:1]
	s_cbranch_execz .LBB15_138
; %bb.133:                              ;   in Loop: Header=BB15_76 Depth=1
	global_load_dwordx2 v[26:27], v28, s[2:3] offset:24 glc
	s_waitcnt vmcnt(0)
	buffer_wbinvl1_vol
	global_load_dwordx2 v[2:3], v28, s[2:3] offset:40
	global_load_dwordx2 v[8:9], v28, s[2:3]
	s_waitcnt vmcnt(1)
	v_and_b32_e32 v2, v2, v26
	v_and_b32_e32 v3, v3, v27
	v_mul_lo_u32 v3, v3, 24
	v_mul_hi_u32 v24, v2, 24
	v_mul_lo_u32 v2, v2, 24
	v_add_u32_e32 v3, v24, v3
	s_waitcnt vmcnt(0)
	v_add_co_u32_e32 v2, vcc, v8, v2
	v_addc_co_u32_e32 v3, vcc, v9, v3, vcc
	global_load_dwordx2 v[24:25], v[2:3], off glc
	s_waitcnt vmcnt(0)
	global_atomic_cmpswap_x2 v[2:3], v28, v[24:27], s[2:3] offset:24 glc
	s_waitcnt vmcnt(0)
	buffer_wbinvl1_vol
	v_cmp_ne_u64_e32 vcc, v[2:3], v[26:27]
	s_and_saveexec_b64 s[12:13], vcc
	s_cbranch_execz .LBB15_137
; %bb.134:                              ;   in Loop: Header=BB15_76 Depth=1
	s_mov_b64 s[14:15], 0
.LBB15_135:                             ;   Parent Loop BB15_76 Depth=1
                                        ; =>  This Inner Loop Header: Depth=2
	s_sleep 1
	global_load_dwordx2 v[8:9], v28, s[2:3] offset:40
	global_load_dwordx2 v[24:25], v28, s[2:3]
	v_mov_b32_e32 v27, v3
	v_mov_b32_e32 v26, v2
	s_waitcnt vmcnt(1)
	v_and_b32_e32 v2, v8, v26
	s_waitcnt vmcnt(0)
	v_mad_u64_u32 v[2:3], s[16:17], v2, 24, v[24:25]
	v_and_b32_e32 v8, v9, v27
	v_mad_u64_u32 v[8:9], s[16:17], v8, 24, v[3:4]
	v_mov_b32_e32 v3, v8
	global_load_dwordx2 v[24:25], v[2:3], off glc
	s_waitcnt vmcnt(0)
	global_atomic_cmpswap_x2 v[2:3], v28, v[24:27], s[2:3] offset:24 glc
	s_waitcnt vmcnt(0)
	buffer_wbinvl1_vol
	v_cmp_eq_u64_e32 vcc, v[2:3], v[26:27]
	s_or_b64 s[14:15], vcc, s[14:15]
	s_andn2_b64 exec, exec, s[14:15]
	s_cbranch_execnz .LBB15_135
; %bb.136:                              ;   in Loop: Header=BB15_76 Depth=1
	s_or_b64 exec, exec, s[14:15]
.LBB15_137:                             ;   in Loop: Header=BB15_76 Depth=1
	s_or_b64 exec, exec, s[12:13]
.LBB15_138:                             ;   in Loop: Header=BB15_76 Depth=1
	s_or_b64 exec, exec, s[10:11]
	global_load_dwordx2 v[8:9], v28, s[2:3] offset:40
	global_load_dwordx4 v[24:27], v28, s[2:3]
	v_readfirstlane_b32 s11, v3
	v_readfirstlane_b32 s10, v2
	s_mov_b64 s[12:13], exec
	s_waitcnt vmcnt(1)
	v_readfirstlane_b32 s14, v8
	v_readfirstlane_b32 s15, v9
	s_and_b64 s[14:15], s[14:15], s[10:11]
	s_mul_i32 s16, s15, 24
	s_mul_hi_u32 s17, s14, 24
	s_mul_i32 s18, s14, 24
	s_add_i32 s16, s17, s16
	v_mov_b32_e32 v2, s16
	s_waitcnt vmcnt(0)
	v_add_co_u32_e32 v29, vcc, s18, v24
	v_addc_co_u32_e32 v30, vcc, v25, v2, vcc
	s_and_saveexec_b64 s[16:17], s[0:1]
	s_cbranch_execz .LBB15_140
; %bb.139:                              ;   in Loop: Header=BB15_76 Depth=1
	v_mov_b32_e32 v8, s12
	v_mov_b32_e32 v9, s13
	global_store_dwordx4 v[29:30], v[8:11], off offset:8
.LBB15_140:                             ;   in Loop: Header=BB15_76 Depth=1
	s_or_b64 exec, exec, s[16:17]
	s_lshl_b64 s[12:13], s[14:15], 12
	v_mov_b32_e32 v2, s13
	v_add_co_u32_e32 v8, vcc, s12, v26
	v_addc_co_u32_e32 v9, vcc, v27, v2, vcc
	v_cmp_lt_u64_e64 vcc, s[4:5], 57
	s_lshl_b32 s12, s8, 2
	v_cndmask_b32_e32 v2, 0, v33, vcc
	s_add_i32 s12, s12, 28
	v_and_b32_e32 v3, 0xffffff1f, v4
	s_and_b32 s12, s12, 0x1e0
	v_or_b32_e32 v2, v3, v2
	v_or_b32_e32 v4, s12, v2
	v_readfirstlane_b32 s12, v8
	v_readfirstlane_b32 s13, v9
	s_nop 4
	global_store_dwordx4 v31, v[4:7], s[12:13]
	global_store_dwordx4 v31, v[12:15], s[12:13] offset:16
	global_store_dwordx4 v31, v[16:19], s[12:13] offset:32
	;; [unrolled: 1-line block ×3, first 2 shown]
	s_and_saveexec_b64 s[12:13], s[0:1]
	s_cbranch_execz .LBB15_148
; %bb.141:                              ;   in Loop: Header=BB15_76 Depth=1
	global_load_dwordx2 v[14:15], v28, s[2:3] offset:32 glc
	global_load_dwordx2 v[2:3], v28, s[2:3] offset:40
	v_mov_b32_e32 v12, s10
	v_mov_b32_e32 v13, s11
	s_waitcnt vmcnt(0)
	v_readfirstlane_b32 s14, v2
	v_readfirstlane_b32 s15, v3
	s_and_b64 s[14:15], s[14:15], s[10:11]
	s_mul_i32 s15, s15, 24
	s_mul_hi_u32 s16, s14, 24
	s_mul_i32 s14, s14, 24
	s_add_i32 s15, s16, s15
	v_mov_b32_e32 v2, s15
	v_add_co_u32_e32 v6, vcc, s14, v24
	v_addc_co_u32_e32 v7, vcc, v25, v2, vcc
	global_store_dwordx2 v[6:7], v[14:15], off
	s_waitcnt vmcnt(0)
	global_atomic_cmpswap_x2 v[4:5], v28, v[12:15], s[2:3] offset:32 glc
	s_waitcnt vmcnt(0)
	v_cmp_ne_u64_e32 vcc, v[4:5], v[14:15]
	s_and_saveexec_b64 s[14:15], vcc
	s_cbranch_execz .LBB15_144
; %bb.142:                              ;   in Loop: Header=BB15_76 Depth=1
	s_mov_b64 s[16:17], 0
.LBB15_143:                             ;   Parent Loop BB15_76 Depth=1
                                        ; =>  This Inner Loop Header: Depth=2
	s_sleep 1
	global_store_dwordx2 v[6:7], v[4:5], off
	v_mov_b32_e32 v2, s10
	v_mov_b32_e32 v3, s11
	s_waitcnt vmcnt(0)
	global_atomic_cmpswap_x2 v[2:3], v28, v[2:5], s[2:3] offset:32 glc
	s_waitcnt vmcnt(0)
	v_cmp_eq_u64_e32 vcc, v[2:3], v[4:5]
	v_mov_b32_e32 v5, v3
	s_or_b64 s[16:17], vcc, s[16:17]
	v_mov_b32_e32 v4, v2
	s_andn2_b64 exec, exec, s[16:17]
	s_cbranch_execnz .LBB15_143
.LBB15_144:                             ;   in Loop: Header=BB15_76 Depth=1
	s_or_b64 exec, exec, s[14:15]
	global_load_dwordx2 v[2:3], v28, s[2:3] offset:16
	s_mov_b64 s[16:17], exec
	v_mbcnt_lo_u32_b32 v4, s16, 0
	v_mbcnt_hi_u32_b32 v4, s17, v4
	v_cmp_eq_u32_e32 vcc, 0, v4
	s_and_saveexec_b64 s[14:15], vcc
	s_cbranch_execz .LBB15_146
; %bb.145:                              ;   in Loop: Header=BB15_76 Depth=1
	s_bcnt1_i32_b64 s16, s[16:17]
	v_mov_b32_e32 v27, s16
	s_waitcnt vmcnt(0)
	global_atomic_add_x2 v[2:3], v[27:28], off offset:8
.LBB15_146:                             ;   in Loop: Header=BB15_76 Depth=1
	s_or_b64 exec, exec, s[14:15]
	s_waitcnt vmcnt(0)
	global_load_dwordx2 v[4:5], v[2:3], off offset:16
	s_waitcnt vmcnt(0)
	v_cmp_eq_u64_e32 vcc, 0, v[4:5]
	s_cbranch_vccnz .LBB15_148
; %bb.147:                              ;   in Loop: Header=BB15_76 Depth=1
	global_load_dword v27, v[2:3], off offset:24
	s_waitcnt vmcnt(0)
	v_readfirstlane_b32 s14, v27
	s_and_b32 m0, s14, 0xffffff
	global_store_dwordx2 v[4:5], v[27:28], off
	s_sendmsg sendmsg(MSG_INTERRUPT)
.LBB15_148:                             ;   in Loop: Header=BB15_76 Depth=1
	s_or_b64 exec, exec, s[12:13]
	v_add_co_u32_e32 v2, vcc, v8, v31
	v_addc_co_u32_e32 v3, vcc, 0, v9, vcc
	s_branch .LBB15_152
.LBB15_149:                             ;   in Loop: Header=BB15_152 Depth=2
	s_or_b64 exec, exec, s[12:13]
	v_readfirstlane_b32 s12, v4
	s_cmp_eq_u32 s12, 0
	s_cbranch_scc1 .LBB15_151
; %bb.150:                              ;   in Loop: Header=BB15_152 Depth=2
	s_sleep 1
	s_cbranch_execnz .LBB15_152
	s_branch .LBB15_154
.LBB15_151:                             ;   in Loop: Header=BB15_76 Depth=1
	s_branch .LBB15_154
.LBB15_152:                             ;   Parent Loop BB15_76 Depth=1
                                        ; =>  This Inner Loop Header: Depth=2
	v_mov_b32_e32 v4, 1
	s_and_saveexec_b64 s[12:13], s[0:1]
	s_cbranch_execz .LBB15_149
; %bb.153:                              ;   in Loop: Header=BB15_152 Depth=2
	global_load_dword v4, v[29:30], off offset:20 glc
	s_waitcnt vmcnt(0)
	buffer_wbinvl1_vol
	v_and_b32_e32 v4, 1, v4
	s_branch .LBB15_149
.LBB15_154:                             ;   in Loop: Header=BB15_76 Depth=1
	global_load_dwordx2 v[4:5], v[2:3], off
	s_and_saveexec_b64 s[12:13], s[0:1]
	s_cbranch_execz .LBB15_75
; %bb.155:                              ;   in Loop: Header=BB15_76 Depth=1
	global_load_dwordx2 v[2:3], v28, s[2:3] offset:40
	global_load_dwordx2 v[14:15], v28, s[2:3] offset:24 glc
	global_load_dwordx2 v[6:7], v28, s[2:3]
	s_waitcnt vmcnt(2)
	v_readfirstlane_b32 s14, v2
	v_readfirstlane_b32 s15, v3
	s_add_u32 s16, s14, 1
	s_addc_u32 s17, s15, 0
	s_add_u32 s0, s16, s10
	s_addc_u32 s1, s17, s11
	s_cmp_eq_u64 s[0:1], 0
	s_cselect_b32 s1, s17, s1
	s_cselect_b32 s0, s16, s0
	s_and_b64 s[10:11], s[0:1], s[14:15]
	s_mul_i32 s11, s11, 24
	s_mul_hi_u32 s14, s10, 24
	s_mul_i32 s10, s10, 24
	s_add_i32 s11, s14, s11
	v_mov_b32_e32 v3, s11
	s_waitcnt vmcnt(0)
	v_add_co_u32_e32 v2, vcc, s10, v6
	v_addc_co_u32_e32 v3, vcc, v7, v3, vcc
	v_mov_b32_e32 v12, s0
	global_store_dwordx2 v[2:3], v[14:15], off
	v_mov_b32_e32 v13, s1
	s_waitcnt vmcnt(0)
	global_atomic_cmpswap_x2 v[8:9], v28, v[12:15], s[2:3] offset:24 glc
	s_waitcnt vmcnt(0)
	v_cmp_ne_u64_e32 vcc, v[8:9], v[14:15]
	s_and_b64 exec, exec, vcc
	s_cbranch_execz .LBB15_75
; %bb.156:                              ;   in Loop: Header=BB15_76 Depth=1
	s_mov_b64 s[10:11], 0
.LBB15_157:                             ;   Parent Loop BB15_76 Depth=1
                                        ; =>  This Inner Loop Header: Depth=2
	s_sleep 1
	global_store_dwordx2 v[2:3], v[8:9], off
	v_mov_b32_e32 v6, s0
	v_mov_b32_e32 v7, s1
	s_waitcnt vmcnt(0)
	global_atomic_cmpswap_x2 v[6:7], v28, v[6:9], s[2:3] offset:24 glc
	s_waitcnt vmcnt(0)
	v_cmp_eq_u64_e32 vcc, v[6:7], v[8:9]
	v_mov_b32_e32 v9, v7
	s_or_b64 s[10:11], vcc, s[10:11]
	v_mov_b32_e32 v8, v6
	s_andn2_b64 exec, exec, s[10:11]
	s_cbranch_execnz .LBB15_157
	s_branch .LBB15_75
.LBB15_158:
	s_mov_b64 s[0:1], -1
                                        ; implicit-def: $vgpr4_vgpr5
	s_branch .LBB15_160
.LBB15_159:
	s_mov_b64 s[0:1], 0
.LBB15_160:
	s_and_b64 vcc, exec, s[0:1]
	s_cbranch_vccz .LBB15_187
; %bb.161:
	v_readfirstlane_b32 s0, v32
	v_mov_b32_e32 v8, 0
	v_mov_b32_e32 v9, 0
	v_cmp_eq_u32_e64 s[0:1], s0, v32
	s_and_saveexec_b64 s[4:5], s[0:1]
	s_cbranch_execz .LBB15_167
; %bb.162:
	v_mov_b32_e32 v2, 0
	global_load_dwordx2 v[5:6], v2, s[2:3] offset:24 glc
	s_waitcnt vmcnt(0)
	buffer_wbinvl1_vol
	global_load_dwordx2 v[3:4], v2, s[2:3] offset:40
	global_load_dwordx2 v[7:8], v2, s[2:3]
	s_waitcnt vmcnt(1)
	v_and_b32_e32 v3, v3, v5
	v_and_b32_e32 v4, v4, v6
	v_mul_lo_u32 v4, v4, 24
	v_mul_hi_u32 v9, v3, 24
	v_mul_lo_u32 v3, v3, 24
	v_add_u32_e32 v4, v9, v4
	s_waitcnt vmcnt(0)
	v_add_co_u32_e32 v3, vcc, v7, v3
	v_addc_co_u32_e32 v4, vcc, v8, v4, vcc
	global_load_dwordx2 v[3:4], v[3:4], off glc
	s_waitcnt vmcnt(0)
	global_atomic_cmpswap_x2 v[8:9], v2, v[3:6], s[2:3] offset:24 glc
	s_waitcnt vmcnt(0)
	buffer_wbinvl1_vol
	v_cmp_ne_u64_e32 vcc, v[8:9], v[5:6]
	s_and_saveexec_b64 s[6:7], vcc
	s_cbranch_execz .LBB15_166
; %bb.163:
	s_mov_b64 s[8:9], 0
.LBB15_164:                             ; =>This Inner Loop Header: Depth=1
	s_sleep 1
	global_load_dwordx2 v[3:4], v2, s[2:3] offset:40
	global_load_dwordx2 v[10:11], v2, s[2:3]
	v_mov_b32_e32 v5, v8
	v_mov_b32_e32 v6, v9
	s_waitcnt vmcnt(1)
	v_and_b32_e32 v3, v3, v5
	s_waitcnt vmcnt(0)
	v_mad_u64_u32 v[7:8], s[10:11], v3, 24, v[10:11]
	v_and_b32_e32 v4, v4, v6
	v_mov_b32_e32 v3, v8
	v_mad_u64_u32 v[3:4], s[10:11], v4, 24, v[3:4]
	v_mov_b32_e32 v8, v3
	global_load_dwordx2 v[3:4], v[7:8], off glc
	s_waitcnt vmcnt(0)
	global_atomic_cmpswap_x2 v[8:9], v2, v[3:6], s[2:3] offset:24 glc
	s_waitcnt vmcnt(0)
	buffer_wbinvl1_vol
	v_cmp_eq_u64_e32 vcc, v[8:9], v[5:6]
	s_or_b64 s[8:9], vcc, s[8:9]
	s_andn2_b64 exec, exec, s[8:9]
	s_cbranch_execnz .LBB15_164
; %bb.165:
	s_or_b64 exec, exec, s[8:9]
.LBB15_166:
	s_or_b64 exec, exec, s[6:7]
.LBB15_167:
	s_or_b64 exec, exec, s[4:5]
	v_mov_b32_e32 v2, 0
	global_load_dwordx2 v[10:11], v2, s[2:3] offset:40
	global_load_dwordx4 v[4:7], v2, s[2:3]
	v_readfirstlane_b32 s5, v9
	v_readfirstlane_b32 s4, v8
	s_mov_b64 s[6:7], exec
	s_waitcnt vmcnt(1)
	v_readfirstlane_b32 s8, v10
	v_readfirstlane_b32 s9, v11
	s_and_b64 s[8:9], s[8:9], s[4:5]
	s_mul_i32 s10, s9, 24
	s_mul_hi_u32 s11, s8, 24
	s_mul_i32 s12, s8, 24
	s_add_i32 s10, s11, s10
	v_mov_b32_e32 v3, s10
	s_waitcnt vmcnt(0)
	v_add_co_u32_e32 v8, vcc, s12, v4
	v_addc_co_u32_e32 v9, vcc, v5, v3, vcc
	s_and_saveexec_b64 s[10:11], s[0:1]
	s_cbranch_execz .LBB15_169
; %bb.168:
	v_mov_b32_e32 v11, s7
	v_mov_b32_e32 v10, s6
	;; [unrolled: 1-line block ×4, first 2 shown]
	global_store_dwordx4 v[8:9], v[10:13], off offset:8
.LBB15_169:
	s_or_b64 exec, exec, s[10:11]
	s_lshl_b64 s[6:7], s[8:9], 12
	v_mov_b32_e32 v3, s7
	v_add_co_u32_e32 v10, vcc, s6, v6
	v_addc_co_u32_e32 v11, vcc, v7, v3, vcc
	s_movk_i32 s6, 0xff1f
	v_and_or_b32 v0, v0, s6, 32
	s_mov_b32 s8, 0
	v_mov_b32_e32 v3, v2
	v_readfirstlane_b32 s6, v10
	v_readfirstlane_b32 s7, v11
	v_add_co_u32_e32 v6, vcc, v10, v31
	s_mov_b32 s9, s8
	s_mov_b32 s10, s8
	;; [unrolled: 1-line block ×3, first 2 shown]
	s_nop 0
	global_store_dwordx4 v31, v[0:3], s[6:7]
	v_addc_co_u32_e32 v7, vcc, 0, v11, vcc
	v_mov_b32_e32 v0, s8
	v_mov_b32_e32 v1, s9
	;; [unrolled: 1-line block ×4, first 2 shown]
	global_store_dwordx4 v31, v[0:3], s[6:7] offset:16
	global_store_dwordx4 v31, v[0:3], s[6:7] offset:32
	;; [unrolled: 1-line block ×3, first 2 shown]
	s_and_saveexec_b64 s[6:7], s[0:1]
	s_cbranch_execz .LBB15_177
; %bb.170:
	v_mov_b32_e32 v10, 0
	global_load_dwordx2 v[13:14], v10, s[2:3] offset:32 glc
	global_load_dwordx2 v[0:1], v10, s[2:3] offset:40
	v_mov_b32_e32 v11, s4
	v_mov_b32_e32 v12, s5
	s_waitcnt vmcnt(0)
	v_readfirstlane_b32 s8, v0
	v_readfirstlane_b32 s9, v1
	s_and_b64 s[8:9], s[8:9], s[4:5]
	s_mul_i32 s9, s9, 24
	s_mul_hi_u32 s10, s8, 24
	s_mul_i32 s8, s8, 24
	s_add_i32 s9, s10, s9
	v_mov_b32_e32 v0, s9
	v_add_co_u32_e32 v4, vcc, s8, v4
	v_addc_co_u32_e32 v5, vcc, v5, v0, vcc
	global_store_dwordx2 v[4:5], v[13:14], off
	s_waitcnt vmcnt(0)
	global_atomic_cmpswap_x2 v[2:3], v10, v[11:14], s[2:3] offset:32 glc
	s_waitcnt vmcnt(0)
	v_cmp_ne_u64_e32 vcc, v[2:3], v[13:14]
	s_and_saveexec_b64 s[8:9], vcc
	s_cbranch_execz .LBB15_173
; %bb.171:
	s_mov_b64 s[10:11], 0
.LBB15_172:                             ; =>This Inner Loop Header: Depth=1
	s_sleep 1
	global_store_dwordx2 v[4:5], v[2:3], off
	v_mov_b32_e32 v0, s4
	v_mov_b32_e32 v1, s5
	s_waitcnt vmcnt(0)
	global_atomic_cmpswap_x2 v[0:1], v10, v[0:3], s[2:3] offset:32 glc
	s_waitcnt vmcnt(0)
	v_cmp_eq_u64_e32 vcc, v[0:1], v[2:3]
	v_mov_b32_e32 v3, v1
	s_or_b64 s[10:11], vcc, s[10:11]
	v_mov_b32_e32 v2, v0
	s_andn2_b64 exec, exec, s[10:11]
	s_cbranch_execnz .LBB15_172
.LBB15_173:
	s_or_b64 exec, exec, s[8:9]
	v_mov_b32_e32 v3, 0
	global_load_dwordx2 v[0:1], v3, s[2:3] offset:16
	s_mov_b64 s[8:9], exec
	v_mbcnt_lo_u32_b32 v2, s8, 0
	v_mbcnt_hi_u32_b32 v2, s9, v2
	v_cmp_eq_u32_e32 vcc, 0, v2
	s_and_saveexec_b64 s[10:11], vcc
	s_cbranch_execz .LBB15_175
; %bb.174:
	s_bcnt1_i32_b64 s8, s[8:9]
	v_mov_b32_e32 v2, s8
	s_waitcnt vmcnt(0)
	global_atomic_add_x2 v[0:1], v[2:3], off offset:8
.LBB15_175:
	s_or_b64 exec, exec, s[10:11]
	s_waitcnt vmcnt(0)
	global_load_dwordx2 v[2:3], v[0:1], off offset:16
	s_waitcnt vmcnt(0)
	v_cmp_eq_u64_e32 vcc, 0, v[2:3]
	s_cbranch_vccnz .LBB15_177
; %bb.176:
	global_load_dword v0, v[0:1], off offset:24
	v_mov_b32_e32 v1, 0
	s_waitcnt vmcnt(0)
	v_readfirstlane_b32 s8, v0
	s_and_b32 m0, s8, 0xffffff
	global_store_dwordx2 v[2:3], v[0:1], off
	s_sendmsg sendmsg(MSG_INTERRUPT)
.LBB15_177:
	s_or_b64 exec, exec, s[6:7]
	s_branch .LBB15_181
.LBB15_178:                             ;   in Loop: Header=BB15_181 Depth=1
	s_or_b64 exec, exec, s[6:7]
	v_readfirstlane_b32 s6, v0
	s_cmp_eq_u32 s6, 0
	s_cbranch_scc1 .LBB15_180
; %bb.179:                              ;   in Loop: Header=BB15_181 Depth=1
	s_sleep 1
	s_cbranch_execnz .LBB15_181
	s_branch .LBB15_183
.LBB15_180:
	s_branch .LBB15_183
.LBB15_181:                             ; =>This Inner Loop Header: Depth=1
	v_mov_b32_e32 v0, 1
	s_and_saveexec_b64 s[6:7], s[0:1]
	s_cbranch_execz .LBB15_178
; %bb.182:                              ;   in Loop: Header=BB15_181 Depth=1
	global_load_dword v0, v[8:9], off offset:20 glc
	s_waitcnt vmcnt(0)
	buffer_wbinvl1_vol
	v_and_b32_e32 v0, 1, v0
	s_branch .LBB15_178
.LBB15_183:
	global_load_dwordx2 v[4:5], v[6:7], off
	s_and_saveexec_b64 s[6:7], s[0:1]
	s_cbranch_execz .LBB15_186
; %bb.184:
	v_mov_b32_e32 v8, 0
	global_load_dwordx2 v[0:1], v8, s[2:3] offset:40
	global_load_dwordx2 v[11:12], v8, s[2:3] offset:24 glc
	global_load_dwordx2 v[2:3], v8, s[2:3]
	s_waitcnt vmcnt(2)
	v_readfirstlane_b32 s8, v0
	v_readfirstlane_b32 s9, v1
	s_add_u32 s10, s8, 1
	s_addc_u32 s11, s9, 0
	s_add_u32 s0, s10, s4
	s_addc_u32 s1, s11, s5
	s_cmp_eq_u64 s[0:1], 0
	s_cselect_b32 s1, s11, s1
	s_cselect_b32 s0, s10, s0
	s_and_b64 s[4:5], s[0:1], s[8:9]
	s_mul_i32 s5, s5, 24
	s_mul_hi_u32 s8, s4, 24
	s_mul_i32 s4, s4, 24
	s_add_i32 s5, s8, s5
	v_mov_b32_e32 v0, s5
	s_waitcnt vmcnt(0)
	v_add_co_u32_e32 v6, vcc, s4, v2
	v_addc_co_u32_e32 v7, vcc, v3, v0, vcc
	v_mov_b32_e32 v9, s0
	global_store_dwordx2 v[6:7], v[11:12], off
	v_mov_b32_e32 v10, s1
	s_waitcnt vmcnt(0)
	global_atomic_cmpswap_x2 v[2:3], v8, v[9:12], s[2:3] offset:24 glc
	s_mov_b64 s[4:5], 0
	s_waitcnt vmcnt(0)
	v_cmp_ne_u64_e32 vcc, v[2:3], v[11:12]
	s_and_b64 exec, exec, vcc
	s_cbranch_execz .LBB15_186
.LBB15_185:                             ; =>This Inner Loop Header: Depth=1
	s_sleep 1
	global_store_dwordx2 v[6:7], v[2:3], off
	v_mov_b32_e32 v0, s0
	v_mov_b32_e32 v1, s1
	s_waitcnt vmcnt(0)
	global_atomic_cmpswap_x2 v[0:1], v8, v[0:3], s[2:3] offset:24 glc
	s_waitcnt vmcnt(0)
	v_cmp_eq_u64_e32 vcc, v[0:1], v[2:3]
	v_mov_b32_e32 v3, v1
	s_or_b64 s[4:5], vcc, s[4:5]
	v_mov_b32_e32 v2, v0
	s_andn2_b64 exec, exec, s[4:5]
	s_cbranch_execnz .LBB15_185
.LBB15_186:
	s_or_b64 exec, exec, s[6:7]
.LBB15_187:
	s_getpc_b64 s[4:5]
	s_add_u32 s4, s4, .str.1@rel32@lo+4
	s_addc_u32 s5, s5, .str.1@rel32@hi+12
	s_cmp_lg_u64 s[4:5], 0
	s_cbranch_scc0 .LBB15_272
; %bb.188:
	s_waitcnt vmcnt(0)
	v_and_b32_e32 v29, 2, v4
	v_mov_b32_e32 v26, 0
	v_and_b32_e32 v0, -3, v4
	v_mov_b32_e32 v1, v5
	s_mov_b64 s[6:7], 0x61
	v_mov_b32_e32 v8, 2
	v_mov_b32_e32 v9, 1
	s_branch .LBB15_190
.LBB15_189:                             ;   in Loop: Header=BB15_190 Depth=1
	s_or_b64 exec, exec, s[12:13]
	s_sub_u32 s6, s6, s8
	s_subb_u32 s7, s7, s9
	s_add_u32 s4, s4, s8
	s_addc_u32 s5, s5, s9
	s_cmp_lg_u64 s[6:7], 0
	s_cbranch_scc0 .LBB15_273
.LBB15_190:                             ; =>This Loop Header: Depth=1
                                        ;     Child Loop BB15_193 Depth 2
                                        ;     Child Loop BB15_201 Depth 2
	;; [unrolled: 1-line block ×11, first 2 shown]
	v_cmp_lt_u64_e64 s[0:1], s[6:7], 56
	v_cmp_gt_u64_e64 s[10:11], s[6:7], 7
	s_and_b64 s[0:1], s[0:1], exec
	s_cselect_b32 s9, s7, 0
	s_cselect_b32 s8, s6, 56
	s_add_u32 s0, s4, 8
	s_addc_u32 s1, s5, 0
	s_and_b64 vcc, exec, s[10:11]
	s_cbranch_vccnz .LBB15_194
; %bb.191:                              ;   in Loop: Header=BB15_190 Depth=1
	s_cmp_eq_u64 s[6:7], 0
	s_cbranch_scc1 .LBB15_195
; %bb.192:                              ;   in Loop: Header=BB15_190 Depth=1
	v_mov_b32_e32 v2, 0
	s_lshl_b64 s[0:1], s[8:9], 3
	s_mov_b64 s[10:11], 0
	v_mov_b32_e32 v3, 0
	s_mov_b64 s[12:13], s[4:5]
.LBB15_193:                             ;   Parent Loop BB15_190 Depth=1
                                        ; =>  This Inner Loop Header: Depth=2
	global_load_ubyte v6, v26, s[12:13]
	s_waitcnt vmcnt(0)
	v_and_b32_e32 v25, 0xffff, v6
	v_lshlrev_b64 v[6:7], s10, v[25:26]
	s_add_u32 s10, s10, 8
	s_addc_u32 s11, s11, 0
	s_add_u32 s12, s12, 1
	s_addc_u32 s13, s13, 0
	v_or_b32_e32 v2, v6, v2
	s_cmp_lg_u32 s0, s10
	v_or_b32_e32 v3, v7, v3
	s_cbranch_scc1 .LBB15_193
	s_branch .LBB15_196
.LBB15_194:                             ;   in Loop: Header=BB15_190 Depth=1
	s_mov_b32 s14, 0
	s_branch .LBB15_197
.LBB15_195:                             ;   in Loop: Header=BB15_190 Depth=1
	v_mov_b32_e32 v2, 0
	v_mov_b32_e32 v3, 0
.LBB15_196:                             ;   in Loop: Header=BB15_190 Depth=1
	s_mov_b64 s[0:1], s[4:5]
	s_mov_b32 s14, 0
	s_cbranch_execnz .LBB15_198
.LBB15_197:                             ;   in Loop: Header=BB15_190 Depth=1
	global_load_dwordx2 v[2:3], v26, s[4:5]
	s_add_i32 s14, s8, -8
.LBB15_198:                             ;   in Loop: Header=BB15_190 Depth=1
	s_add_u32 s10, s0, 8
	s_addc_u32 s11, s1, 0
	s_cmp_gt_u32 s14, 7
	s_cbranch_scc1 .LBB15_202
; %bb.199:                              ;   in Loop: Header=BB15_190 Depth=1
	s_cmp_eq_u32 s14, 0
	s_cbranch_scc1 .LBB15_203
; %bb.200:                              ;   in Loop: Header=BB15_190 Depth=1
	v_mov_b32_e32 v10, 0
	s_mov_b64 s[10:11], 0
	v_mov_b32_e32 v11, 0
	s_mov_b64 s[12:13], 0
.LBB15_201:                             ;   Parent Loop BB15_190 Depth=1
                                        ; =>  This Inner Loop Header: Depth=2
	s_add_u32 s16, s0, s12
	s_addc_u32 s17, s1, s13
	global_load_ubyte v6, v26, s[16:17]
	s_add_u32 s12, s12, 1
	s_addc_u32 s13, s13, 0
	s_waitcnt vmcnt(0)
	v_and_b32_e32 v25, 0xffff, v6
	v_lshlrev_b64 v[6:7], s10, v[25:26]
	s_add_u32 s10, s10, 8
	s_addc_u32 s11, s11, 0
	v_or_b32_e32 v10, v6, v10
	s_cmp_lg_u32 s14, s12
	v_or_b32_e32 v11, v7, v11
	s_cbranch_scc1 .LBB15_201
	s_branch .LBB15_204
.LBB15_202:                             ;   in Loop: Header=BB15_190 Depth=1
                                        ; implicit-def: $vgpr10_vgpr11
	s_mov_b32 s15, 0
	s_branch .LBB15_205
.LBB15_203:                             ;   in Loop: Header=BB15_190 Depth=1
	v_mov_b32_e32 v10, 0
	v_mov_b32_e32 v11, 0
.LBB15_204:                             ;   in Loop: Header=BB15_190 Depth=1
	s_mov_b64 s[10:11], s[0:1]
	s_mov_b32 s15, 0
	s_cbranch_execnz .LBB15_206
.LBB15_205:                             ;   in Loop: Header=BB15_190 Depth=1
	global_load_dwordx2 v[10:11], v26, s[0:1]
	s_add_i32 s15, s14, -8
.LBB15_206:                             ;   in Loop: Header=BB15_190 Depth=1
	s_add_u32 s0, s10, 8
	s_addc_u32 s1, s11, 0
	s_cmp_gt_u32 s15, 7
	s_cbranch_scc1 .LBB15_210
; %bb.207:                              ;   in Loop: Header=BB15_190 Depth=1
	s_cmp_eq_u32 s15, 0
	s_cbranch_scc1 .LBB15_211
; %bb.208:                              ;   in Loop: Header=BB15_190 Depth=1
	v_mov_b32_e32 v12, 0
	s_mov_b64 s[0:1], 0
	v_mov_b32_e32 v13, 0
	s_mov_b64 s[12:13], 0
.LBB15_209:                             ;   Parent Loop BB15_190 Depth=1
                                        ; =>  This Inner Loop Header: Depth=2
	s_add_u32 s16, s10, s12
	s_addc_u32 s17, s11, s13
	global_load_ubyte v6, v26, s[16:17]
	s_add_u32 s12, s12, 1
	s_addc_u32 s13, s13, 0
	s_waitcnt vmcnt(0)
	v_and_b32_e32 v25, 0xffff, v6
	v_lshlrev_b64 v[6:7], s0, v[25:26]
	s_add_u32 s0, s0, 8
	s_addc_u32 s1, s1, 0
	v_or_b32_e32 v12, v6, v12
	s_cmp_lg_u32 s15, s12
	v_or_b32_e32 v13, v7, v13
	s_cbranch_scc1 .LBB15_209
	s_branch .LBB15_212
.LBB15_210:                             ;   in Loop: Header=BB15_190 Depth=1
	s_mov_b32 s14, 0
	s_branch .LBB15_213
.LBB15_211:                             ;   in Loop: Header=BB15_190 Depth=1
	v_mov_b32_e32 v12, 0
	v_mov_b32_e32 v13, 0
.LBB15_212:                             ;   in Loop: Header=BB15_190 Depth=1
	s_mov_b64 s[0:1], s[10:11]
	s_mov_b32 s14, 0
	s_cbranch_execnz .LBB15_214
.LBB15_213:                             ;   in Loop: Header=BB15_190 Depth=1
	global_load_dwordx2 v[12:13], v26, s[10:11]
	s_add_i32 s14, s15, -8
.LBB15_214:                             ;   in Loop: Header=BB15_190 Depth=1
	s_add_u32 s10, s0, 8
	s_addc_u32 s11, s1, 0
	s_cmp_gt_u32 s14, 7
	s_cbranch_scc1 .LBB15_218
; %bb.215:                              ;   in Loop: Header=BB15_190 Depth=1
	s_cmp_eq_u32 s14, 0
	s_cbranch_scc1 .LBB15_219
; %bb.216:                              ;   in Loop: Header=BB15_190 Depth=1
	v_mov_b32_e32 v14, 0
	s_mov_b64 s[10:11], 0
	v_mov_b32_e32 v15, 0
	s_mov_b64 s[12:13], 0
.LBB15_217:                             ;   Parent Loop BB15_190 Depth=1
                                        ; =>  This Inner Loop Header: Depth=2
	s_add_u32 s16, s0, s12
	s_addc_u32 s17, s1, s13
	global_load_ubyte v6, v26, s[16:17]
	s_add_u32 s12, s12, 1
	s_addc_u32 s13, s13, 0
	s_waitcnt vmcnt(0)
	v_and_b32_e32 v25, 0xffff, v6
	v_lshlrev_b64 v[6:7], s10, v[25:26]
	s_add_u32 s10, s10, 8
	s_addc_u32 s11, s11, 0
	v_or_b32_e32 v14, v6, v14
	s_cmp_lg_u32 s14, s12
	v_or_b32_e32 v15, v7, v15
	s_cbranch_scc1 .LBB15_217
	s_branch .LBB15_220
.LBB15_218:                             ;   in Loop: Header=BB15_190 Depth=1
                                        ; implicit-def: $vgpr14_vgpr15
	s_mov_b32 s15, 0
	s_branch .LBB15_221
.LBB15_219:                             ;   in Loop: Header=BB15_190 Depth=1
	v_mov_b32_e32 v14, 0
	v_mov_b32_e32 v15, 0
.LBB15_220:                             ;   in Loop: Header=BB15_190 Depth=1
	s_mov_b64 s[10:11], s[0:1]
	s_mov_b32 s15, 0
	s_cbranch_execnz .LBB15_222
.LBB15_221:                             ;   in Loop: Header=BB15_190 Depth=1
	global_load_dwordx2 v[14:15], v26, s[0:1]
	s_add_i32 s15, s14, -8
.LBB15_222:                             ;   in Loop: Header=BB15_190 Depth=1
	s_add_u32 s0, s10, 8
	s_addc_u32 s1, s11, 0
	s_cmp_gt_u32 s15, 7
	s_cbranch_scc1 .LBB15_226
; %bb.223:                              ;   in Loop: Header=BB15_190 Depth=1
	s_cmp_eq_u32 s15, 0
	s_cbranch_scc1 .LBB15_227
; %bb.224:                              ;   in Loop: Header=BB15_190 Depth=1
	v_mov_b32_e32 v16, 0
	s_mov_b64 s[0:1], 0
	v_mov_b32_e32 v17, 0
	s_mov_b64 s[12:13], 0
.LBB15_225:                             ;   Parent Loop BB15_190 Depth=1
                                        ; =>  This Inner Loop Header: Depth=2
	s_add_u32 s16, s10, s12
	s_addc_u32 s17, s11, s13
	global_load_ubyte v6, v26, s[16:17]
	s_add_u32 s12, s12, 1
	s_addc_u32 s13, s13, 0
	s_waitcnt vmcnt(0)
	v_and_b32_e32 v25, 0xffff, v6
	v_lshlrev_b64 v[6:7], s0, v[25:26]
	s_add_u32 s0, s0, 8
	s_addc_u32 s1, s1, 0
	v_or_b32_e32 v16, v6, v16
	s_cmp_lg_u32 s15, s12
	v_or_b32_e32 v17, v7, v17
	s_cbranch_scc1 .LBB15_225
	s_branch .LBB15_228
.LBB15_226:                             ;   in Loop: Header=BB15_190 Depth=1
	s_mov_b32 s14, 0
	s_branch .LBB15_229
.LBB15_227:                             ;   in Loop: Header=BB15_190 Depth=1
	v_mov_b32_e32 v16, 0
	v_mov_b32_e32 v17, 0
.LBB15_228:                             ;   in Loop: Header=BB15_190 Depth=1
	s_mov_b64 s[0:1], s[10:11]
	s_mov_b32 s14, 0
	s_cbranch_execnz .LBB15_230
.LBB15_229:                             ;   in Loop: Header=BB15_190 Depth=1
	global_load_dwordx2 v[16:17], v26, s[10:11]
	s_add_i32 s14, s15, -8
.LBB15_230:                             ;   in Loop: Header=BB15_190 Depth=1
	s_add_u32 s10, s0, 8
	s_addc_u32 s11, s1, 0
	s_cmp_gt_u32 s14, 7
	s_cbranch_scc1 .LBB15_234
; %bb.231:                              ;   in Loop: Header=BB15_190 Depth=1
	s_cmp_eq_u32 s14, 0
	s_cbranch_scc1 .LBB15_235
; %bb.232:                              ;   in Loop: Header=BB15_190 Depth=1
	v_mov_b32_e32 v18, 0
	s_mov_b64 s[10:11], 0
	v_mov_b32_e32 v19, 0
	s_mov_b64 s[12:13], 0
.LBB15_233:                             ;   Parent Loop BB15_190 Depth=1
                                        ; =>  This Inner Loop Header: Depth=2
	s_add_u32 s16, s0, s12
	s_addc_u32 s17, s1, s13
	global_load_ubyte v6, v26, s[16:17]
	s_add_u32 s12, s12, 1
	s_addc_u32 s13, s13, 0
	s_waitcnt vmcnt(0)
	v_and_b32_e32 v25, 0xffff, v6
	v_lshlrev_b64 v[6:7], s10, v[25:26]
	s_add_u32 s10, s10, 8
	s_addc_u32 s11, s11, 0
	v_or_b32_e32 v18, v6, v18
	s_cmp_lg_u32 s14, s12
	v_or_b32_e32 v19, v7, v19
	s_cbranch_scc1 .LBB15_233
	s_branch .LBB15_236
.LBB15_234:                             ;   in Loop: Header=BB15_190 Depth=1
                                        ; implicit-def: $vgpr18_vgpr19
	s_mov_b32 s15, 0
	s_branch .LBB15_237
.LBB15_235:                             ;   in Loop: Header=BB15_190 Depth=1
	v_mov_b32_e32 v18, 0
	v_mov_b32_e32 v19, 0
.LBB15_236:                             ;   in Loop: Header=BB15_190 Depth=1
	s_mov_b64 s[10:11], s[0:1]
	s_mov_b32 s15, 0
	s_cbranch_execnz .LBB15_238
.LBB15_237:                             ;   in Loop: Header=BB15_190 Depth=1
	global_load_dwordx2 v[18:19], v26, s[0:1]
	s_add_i32 s15, s14, -8
.LBB15_238:                             ;   in Loop: Header=BB15_190 Depth=1
	s_cmp_gt_u32 s15, 7
	s_cbranch_scc1 .LBB15_242
; %bb.239:                              ;   in Loop: Header=BB15_190 Depth=1
	s_cmp_eq_u32 s15, 0
	s_cbranch_scc1 .LBB15_243
; %bb.240:                              ;   in Loop: Header=BB15_190 Depth=1
	v_mov_b32_e32 v20, 0
	s_mov_b64 s[0:1], 0
	v_mov_b32_e32 v21, 0
	s_mov_b64 s[12:13], s[10:11]
.LBB15_241:                             ;   Parent Loop BB15_190 Depth=1
                                        ; =>  This Inner Loop Header: Depth=2
	global_load_ubyte v6, v26, s[12:13]
	s_add_i32 s15, s15, -1
	s_waitcnt vmcnt(0)
	v_and_b32_e32 v25, 0xffff, v6
	v_lshlrev_b64 v[6:7], s0, v[25:26]
	s_add_u32 s0, s0, 8
	s_addc_u32 s1, s1, 0
	s_add_u32 s12, s12, 1
	s_addc_u32 s13, s13, 0
	v_or_b32_e32 v20, v6, v20
	s_cmp_lg_u32 s15, 0
	v_or_b32_e32 v21, v7, v21
	s_cbranch_scc1 .LBB15_241
	s_branch .LBB15_244
.LBB15_242:                             ;   in Loop: Header=BB15_190 Depth=1
	s_branch .LBB15_245
.LBB15_243:                             ;   in Loop: Header=BB15_190 Depth=1
	v_mov_b32_e32 v20, 0
	v_mov_b32_e32 v21, 0
.LBB15_244:                             ;   in Loop: Header=BB15_190 Depth=1
	s_cbranch_execnz .LBB15_246
.LBB15_245:                             ;   in Loop: Header=BB15_190 Depth=1
	global_load_dwordx2 v[20:21], v26, s[10:11]
.LBB15_246:                             ;   in Loop: Header=BB15_190 Depth=1
	v_readfirstlane_b32 s0, v32
	v_mov_b32_e32 v6, 0
	v_mov_b32_e32 v7, 0
	v_cmp_eq_u32_e64 s[0:1], s0, v32
	s_and_saveexec_b64 s[10:11], s[0:1]
	s_cbranch_execz .LBB15_252
; %bb.247:                              ;   in Loop: Header=BB15_190 Depth=1
	global_load_dwordx2 v[24:25], v26, s[2:3] offset:24 glc
	s_waitcnt vmcnt(0)
	buffer_wbinvl1_vol
	global_load_dwordx2 v[6:7], v26, s[2:3] offset:40
	global_load_dwordx2 v[22:23], v26, s[2:3]
	s_waitcnt vmcnt(1)
	v_and_b32_e32 v6, v6, v24
	v_and_b32_e32 v7, v7, v25
	v_mul_lo_u32 v7, v7, 24
	v_mul_hi_u32 v27, v6, 24
	v_mul_lo_u32 v6, v6, 24
	v_add_u32_e32 v7, v27, v7
	s_waitcnt vmcnt(0)
	v_add_co_u32_e32 v6, vcc, v22, v6
	v_addc_co_u32_e32 v7, vcc, v23, v7, vcc
	global_load_dwordx2 v[22:23], v[6:7], off glc
	s_waitcnt vmcnt(0)
	global_atomic_cmpswap_x2 v[6:7], v26, v[22:25], s[2:3] offset:24 glc
	s_waitcnt vmcnt(0)
	buffer_wbinvl1_vol
	v_cmp_ne_u64_e32 vcc, v[6:7], v[24:25]
	s_and_saveexec_b64 s[12:13], vcc
	s_cbranch_execz .LBB15_251
; %bb.248:                              ;   in Loop: Header=BB15_190 Depth=1
	s_mov_b64 s[14:15], 0
.LBB15_249:                             ;   Parent Loop BB15_190 Depth=1
                                        ; =>  This Inner Loop Header: Depth=2
	s_sleep 1
	global_load_dwordx2 v[22:23], v26, s[2:3] offset:40
	global_load_dwordx2 v[27:28], v26, s[2:3]
	v_mov_b32_e32 v25, v7
	v_mov_b32_e32 v24, v6
	s_waitcnt vmcnt(1)
	v_and_b32_e32 v6, v22, v24
	s_waitcnt vmcnt(0)
	v_mad_u64_u32 v[6:7], s[16:17], v6, 24, v[27:28]
	v_and_b32_e32 v22, v23, v25
	v_mad_u64_u32 v[22:23], s[16:17], v22, 24, v[7:8]
	v_mov_b32_e32 v7, v22
	global_load_dwordx2 v[22:23], v[6:7], off glc
	s_waitcnt vmcnt(0)
	global_atomic_cmpswap_x2 v[6:7], v26, v[22:25], s[2:3] offset:24 glc
	s_waitcnt vmcnt(0)
	buffer_wbinvl1_vol
	v_cmp_eq_u64_e32 vcc, v[6:7], v[24:25]
	s_or_b64 s[14:15], vcc, s[14:15]
	s_andn2_b64 exec, exec, s[14:15]
	s_cbranch_execnz .LBB15_249
; %bb.250:                              ;   in Loop: Header=BB15_190 Depth=1
	s_or_b64 exec, exec, s[14:15]
.LBB15_251:                             ;   in Loop: Header=BB15_190 Depth=1
	s_or_b64 exec, exec, s[12:13]
.LBB15_252:                             ;   in Loop: Header=BB15_190 Depth=1
	s_or_b64 exec, exec, s[10:11]
	global_load_dwordx2 v[27:28], v26, s[2:3] offset:40
	global_load_dwordx4 v[22:25], v26, s[2:3]
	v_readfirstlane_b32 s11, v7
	v_readfirstlane_b32 s10, v6
	s_mov_b64 s[12:13], exec
	s_waitcnt vmcnt(1)
	v_readfirstlane_b32 s14, v27
	v_readfirstlane_b32 s15, v28
	s_and_b64 s[14:15], s[14:15], s[10:11]
	s_mul_i32 s16, s15, 24
	s_mul_hi_u32 s17, s14, 24
	s_mul_i32 s18, s14, 24
	s_add_i32 s16, s17, s16
	v_mov_b32_e32 v6, s16
	s_waitcnt vmcnt(0)
	v_add_co_u32_e32 v27, vcc, s18, v22
	v_addc_co_u32_e32 v28, vcc, v23, v6, vcc
	s_and_saveexec_b64 s[16:17], s[0:1]
	s_cbranch_execz .LBB15_254
; %bb.253:                              ;   in Loop: Header=BB15_190 Depth=1
	v_mov_b32_e32 v6, s12
	v_mov_b32_e32 v7, s13
	global_store_dwordx4 v[27:28], v[6:9], off offset:8
.LBB15_254:                             ;   in Loop: Header=BB15_190 Depth=1
	s_or_b64 exec, exec, s[16:17]
	s_lshl_b64 s[12:13], s[14:15], 12
	v_mov_b32_e32 v6, s13
	v_add_co_u32_e32 v24, vcc, s12, v24
	v_addc_co_u32_e32 v30, vcc, v25, v6, vcc
	v_cmp_lt_u64_e64 vcc, s[6:7], 57
	s_lshl_b32 s12, s8, 2
	v_cndmask_b32_e32 v6, 0, v29, vcc
	s_add_i32 s12, s12, 28
	v_and_b32_e32 v0, 0xffffff1f, v0
	s_and_b32 s12, s12, 0x1e0
	v_or_b32_e32 v0, v0, v6
	v_or_b32_e32 v0, s12, v0
	v_readfirstlane_b32 s12, v24
	v_readfirstlane_b32 s13, v30
	s_nop 4
	global_store_dwordx4 v31, v[0:3], s[12:13]
	global_store_dwordx4 v31, v[10:13], s[12:13] offset:16
	global_store_dwordx4 v31, v[14:17], s[12:13] offset:32
	global_store_dwordx4 v31, v[18:21], s[12:13] offset:48
	s_and_saveexec_b64 s[12:13], s[0:1]
	s_cbranch_execz .LBB15_262
; %bb.255:                              ;   in Loop: Header=BB15_190 Depth=1
	global_load_dwordx2 v[12:13], v26, s[2:3] offset:32 glc
	global_load_dwordx2 v[0:1], v26, s[2:3] offset:40
	v_mov_b32_e32 v10, s10
	v_mov_b32_e32 v11, s11
	s_waitcnt vmcnt(0)
	v_readfirstlane_b32 s14, v0
	v_readfirstlane_b32 s15, v1
	s_and_b64 s[14:15], s[14:15], s[10:11]
	s_mul_i32 s15, s15, 24
	s_mul_hi_u32 s16, s14, 24
	s_mul_i32 s14, s14, 24
	s_add_i32 s15, s16, s15
	v_mov_b32_e32 v0, s15
	v_add_co_u32_e32 v6, vcc, s14, v22
	v_addc_co_u32_e32 v7, vcc, v23, v0, vcc
	global_store_dwordx2 v[6:7], v[12:13], off
	s_waitcnt vmcnt(0)
	global_atomic_cmpswap_x2 v[2:3], v26, v[10:13], s[2:3] offset:32 glc
	s_waitcnt vmcnt(0)
	v_cmp_ne_u64_e32 vcc, v[2:3], v[12:13]
	s_and_saveexec_b64 s[14:15], vcc
	s_cbranch_execz .LBB15_258
; %bb.256:                              ;   in Loop: Header=BB15_190 Depth=1
	s_mov_b64 s[16:17], 0
.LBB15_257:                             ;   Parent Loop BB15_190 Depth=1
                                        ; =>  This Inner Loop Header: Depth=2
	s_sleep 1
	global_store_dwordx2 v[6:7], v[2:3], off
	v_mov_b32_e32 v0, s10
	v_mov_b32_e32 v1, s11
	s_waitcnt vmcnt(0)
	global_atomic_cmpswap_x2 v[0:1], v26, v[0:3], s[2:3] offset:32 glc
	s_waitcnt vmcnt(0)
	v_cmp_eq_u64_e32 vcc, v[0:1], v[2:3]
	v_mov_b32_e32 v3, v1
	s_or_b64 s[16:17], vcc, s[16:17]
	v_mov_b32_e32 v2, v0
	s_andn2_b64 exec, exec, s[16:17]
	s_cbranch_execnz .LBB15_257
.LBB15_258:                             ;   in Loop: Header=BB15_190 Depth=1
	s_or_b64 exec, exec, s[14:15]
	global_load_dwordx2 v[0:1], v26, s[2:3] offset:16
	s_mov_b64 s[16:17], exec
	v_mbcnt_lo_u32_b32 v2, s16, 0
	v_mbcnt_hi_u32_b32 v2, s17, v2
	v_cmp_eq_u32_e32 vcc, 0, v2
	s_and_saveexec_b64 s[14:15], vcc
	s_cbranch_execz .LBB15_260
; %bb.259:                              ;   in Loop: Header=BB15_190 Depth=1
	s_bcnt1_i32_b64 s16, s[16:17]
	v_mov_b32_e32 v25, s16
	s_waitcnt vmcnt(0)
	global_atomic_add_x2 v[0:1], v[25:26], off offset:8
.LBB15_260:                             ;   in Loop: Header=BB15_190 Depth=1
	s_or_b64 exec, exec, s[14:15]
	s_waitcnt vmcnt(0)
	global_load_dwordx2 v[2:3], v[0:1], off offset:16
	s_waitcnt vmcnt(0)
	v_cmp_eq_u64_e32 vcc, 0, v[2:3]
	s_cbranch_vccnz .LBB15_262
; %bb.261:                              ;   in Loop: Header=BB15_190 Depth=1
	global_load_dword v25, v[0:1], off offset:24
	s_waitcnt vmcnt(0)
	v_readfirstlane_b32 s14, v25
	s_and_b32 m0, s14, 0xffffff
	global_store_dwordx2 v[2:3], v[25:26], off
	s_sendmsg sendmsg(MSG_INTERRUPT)
.LBB15_262:                             ;   in Loop: Header=BB15_190 Depth=1
	s_or_b64 exec, exec, s[12:13]
	v_add_co_u32_e32 v0, vcc, v24, v31
	v_addc_co_u32_e32 v1, vcc, 0, v30, vcc
	s_branch .LBB15_266
.LBB15_263:                             ;   in Loop: Header=BB15_266 Depth=2
	s_or_b64 exec, exec, s[12:13]
	v_readfirstlane_b32 s12, v2
	s_cmp_eq_u32 s12, 0
	s_cbranch_scc1 .LBB15_265
; %bb.264:                              ;   in Loop: Header=BB15_266 Depth=2
	s_sleep 1
	s_cbranch_execnz .LBB15_266
	s_branch .LBB15_268
.LBB15_265:                             ;   in Loop: Header=BB15_190 Depth=1
	s_branch .LBB15_268
.LBB15_266:                             ;   Parent Loop BB15_190 Depth=1
                                        ; =>  This Inner Loop Header: Depth=2
	v_mov_b32_e32 v2, 1
	s_and_saveexec_b64 s[12:13], s[0:1]
	s_cbranch_execz .LBB15_263
; %bb.267:                              ;   in Loop: Header=BB15_266 Depth=2
	global_load_dword v2, v[27:28], off offset:20 glc
	s_waitcnt vmcnt(0)
	buffer_wbinvl1_vol
	v_and_b32_e32 v2, 1, v2
	s_branch .LBB15_263
.LBB15_268:                             ;   in Loop: Header=BB15_190 Depth=1
	global_load_dwordx2 v[0:1], v[0:1], off
	s_and_saveexec_b64 s[12:13], s[0:1]
	s_cbranch_execz .LBB15_189
; %bb.269:                              ;   in Loop: Header=BB15_190 Depth=1
	global_load_dwordx2 v[2:3], v26, s[2:3] offset:40
	global_load_dwordx2 v[14:15], v26, s[2:3] offset:24 glc
	global_load_dwordx2 v[6:7], v26, s[2:3]
	s_waitcnt vmcnt(2)
	v_readfirstlane_b32 s14, v2
	v_readfirstlane_b32 s15, v3
	s_add_u32 s16, s14, 1
	s_addc_u32 s17, s15, 0
	s_add_u32 s0, s16, s10
	s_addc_u32 s1, s17, s11
	s_cmp_eq_u64 s[0:1], 0
	s_cselect_b32 s1, s17, s1
	s_cselect_b32 s0, s16, s0
	s_and_b64 s[10:11], s[0:1], s[14:15]
	s_mul_i32 s11, s11, 24
	s_mul_hi_u32 s14, s10, 24
	s_mul_i32 s10, s10, 24
	s_add_i32 s11, s14, s11
	v_mov_b32_e32 v3, s11
	s_waitcnt vmcnt(0)
	v_add_co_u32_e32 v2, vcc, s10, v6
	v_addc_co_u32_e32 v3, vcc, v7, v3, vcc
	v_mov_b32_e32 v12, s0
	global_store_dwordx2 v[2:3], v[14:15], off
	v_mov_b32_e32 v13, s1
	s_waitcnt vmcnt(0)
	global_atomic_cmpswap_x2 v[12:13], v26, v[12:15], s[2:3] offset:24 glc
	s_waitcnt vmcnt(0)
	v_cmp_ne_u64_e32 vcc, v[12:13], v[14:15]
	s_and_b64 exec, exec, vcc
	s_cbranch_execz .LBB15_189
; %bb.270:                              ;   in Loop: Header=BB15_190 Depth=1
	s_mov_b64 s[10:11], 0
.LBB15_271:                             ;   Parent Loop BB15_190 Depth=1
                                        ; =>  This Inner Loop Header: Depth=2
	s_sleep 1
	global_store_dwordx2 v[2:3], v[12:13], off
	v_mov_b32_e32 v10, s0
	v_mov_b32_e32 v11, s1
	s_waitcnt vmcnt(0)
	global_atomic_cmpswap_x2 v[6:7], v26, v[10:13], s[2:3] offset:24 glc
	s_waitcnt vmcnt(0)
	v_cmp_eq_u64_e32 vcc, v[6:7], v[12:13]
	v_mov_b32_e32 v13, v7
	s_or_b64 s[10:11], vcc, s[10:11]
	v_mov_b32_e32 v12, v6
	s_andn2_b64 exec, exec, s[10:11]
	s_cbranch_execnz .LBB15_271
	s_branch .LBB15_189
.LBB15_272:
	s_mov_b64 s[0:1], -1
                                        ; implicit-def: $vgpr0_vgpr1
	s_branch .LBB15_274
.LBB15_273:
	s_mov_b64 s[0:1], 0
.LBB15_274:
	s_and_b64 vcc, exec, s[0:1]
	s_cbranch_vccz .LBB15_301
; %bb.275:
	v_readfirstlane_b32 s0, v32
	v_mov_b32_e32 v7, 0
	v_mov_b32_e32 v8, 0
	v_cmp_eq_u32_e64 s[0:1], s0, v32
	s_and_saveexec_b64 s[4:5], s[0:1]
	s_cbranch_execz .LBB15_281
; %bb.276:
	s_waitcnt vmcnt(0)
	v_mov_b32_e32 v0, 0
	global_load_dwordx2 v[9:10], v0, s[2:3] offset:24 glc
	s_waitcnt vmcnt(0)
	buffer_wbinvl1_vol
	global_load_dwordx2 v[1:2], v0, s[2:3] offset:40
	global_load_dwordx2 v[6:7], v0, s[2:3]
	s_waitcnt vmcnt(1)
	v_and_b32_e32 v1, v1, v9
	v_and_b32_e32 v2, v2, v10
	v_mul_lo_u32 v2, v2, 24
	v_mul_hi_u32 v3, v1, 24
	v_mul_lo_u32 v1, v1, 24
	v_add_u32_e32 v2, v3, v2
	s_waitcnt vmcnt(0)
	v_add_co_u32_e32 v1, vcc, v6, v1
	v_addc_co_u32_e32 v2, vcc, v7, v2, vcc
	global_load_dwordx2 v[7:8], v[1:2], off glc
	s_waitcnt vmcnt(0)
	global_atomic_cmpswap_x2 v[7:8], v0, v[7:10], s[2:3] offset:24 glc
	s_waitcnt vmcnt(0)
	buffer_wbinvl1_vol
	v_cmp_ne_u64_e32 vcc, v[7:8], v[9:10]
	s_and_saveexec_b64 s[6:7], vcc
	s_cbranch_execz .LBB15_280
; %bb.277:
	s_mov_b64 s[8:9], 0
.LBB15_278:                             ; =>This Inner Loop Header: Depth=1
	s_sleep 1
	global_load_dwordx2 v[1:2], v0, s[2:3] offset:40
	global_load_dwordx2 v[11:12], v0, s[2:3]
	v_mov_b32_e32 v10, v8
	v_mov_b32_e32 v9, v7
	s_waitcnt vmcnt(1)
	v_and_b32_e32 v1, v1, v9
	s_waitcnt vmcnt(0)
	v_mad_u64_u32 v[6:7], s[10:11], v1, 24, v[11:12]
	v_and_b32_e32 v2, v2, v10
	v_mov_b32_e32 v1, v7
	v_mad_u64_u32 v[1:2], s[10:11], v2, 24, v[1:2]
	v_mov_b32_e32 v7, v1
	global_load_dwordx2 v[7:8], v[6:7], off glc
	s_waitcnt vmcnt(0)
	global_atomic_cmpswap_x2 v[7:8], v0, v[7:10], s[2:3] offset:24 glc
	s_waitcnt vmcnt(0)
	buffer_wbinvl1_vol
	v_cmp_eq_u64_e32 vcc, v[7:8], v[9:10]
	s_or_b64 s[8:9], vcc, s[8:9]
	s_andn2_b64 exec, exec, s[8:9]
	s_cbranch_execnz .LBB15_278
; %bb.279:
	s_or_b64 exec, exec, s[8:9]
.LBB15_280:
	s_or_b64 exec, exec, s[6:7]
.LBB15_281:
	s_or_b64 exec, exec, s[4:5]
	v_mov_b32_e32 v6, 0
	global_load_dwordx2 v[9:10], v6, s[2:3] offset:40
	global_load_dwordx4 v[0:3], v6, s[2:3]
	v_readfirstlane_b32 s5, v8
	v_readfirstlane_b32 s4, v7
	s_mov_b64 s[6:7], exec
	s_waitcnt vmcnt(1)
	v_readfirstlane_b32 s8, v9
	v_readfirstlane_b32 s9, v10
	s_and_b64 s[8:9], s[8:9], s[4:5]
	s_mul_i32 s10, s9, 24
	s_mul_hi_u32 s11, s8, 24
	s_mul_i32 s12, s8, 24
	s_add_i32 s10, s11, s10
	v_mov_b32_e32 v7, s10
	s_waitcnt vmcnt(0)
	v_add_co_u32_e32 v8, vcc, s12, v0
	v_addc_co_u32_e32 v9, vcc, v1, v7, vcc
	s_and_saveexec_b64 s[10:11], s[0:1]
	s_cbranch_execz .LBB15_283
; %bb.282:
	v_mov_b32_e32 v11, s7
	v_mov_b32_e32 v10, s6
	;; [unrolled: 1-line block ×4, first 2 shown]
	global_store_dwordx4 v[8:9], v[10:13], off offset:8
.LBB15_283:
	s_or_b64 exec, exec, s[10:11]
	s_lshl_b64 s[6:7], s[8:9], 12
	v_mov_b32_e32 v7, s7
	v_add_co_u32_e32 v2, vcc, s6, v2
	v_addc_co_u32_e32 v3, vcc, v3, v7, vcc
	s_movk_i32 s6, 0xff1f
	v_and_or_b32 v4, v4, s6, 32
	v_add_co_u32_e32 v10, vcc, v2, v31
	s_mov_b32 s8, 0
	v_mov_b32_e32 v7, v6
	v_readfirstlane_b32 s6, v2
	v_readfirstlane_b32 s7, v3
	v_addc_co_u32_e32 v11, vcc, 0, v3, vcc
	s_mov_b32 s9, s8
	s_mov_b32 s10, s8
	;; [unrolled: 1-line block ×3, first 2 shown]
	s_nop 0
	global_store_dwordx4 v31, v[4:7], s[6:7]
	v_mov_b32_e32 v2, s8
	v_mov_b32_e32 v3, s9
	;; [unrolled: 1-line block ×4, first 2 shown]
	global_store_dwordx4 v31, v[2:5], s[6:7] offset:16
	global_store_dwordx4 v31, v[2:5], s[6:7] offset:32
	;; [unrolled: 1-line block ×3, first 2 shown]
	s_and_saveexec_b64 s[6:7], s[0:1]
	s_cbranch_execz .LBB15_291
; %bb.284:
	v_mov_b32_e32 v6, 0
	global_load_dwordx2 v[14:15], v6, s[2:3] offset:32 glc
	global_load_dwordx2 v[2:3], v6, s[2:3] offset:40
	v_mov_b32_e32 v12, s4
	v_mov_b32_e32 v13, s5
	s_waitcnt vmcnt(0)
	v_readfirstlane_b32 s8, v2
	v_readfirstlane_b32 s9, v3
	s_and_b64 s[8:9], s[8:9], s[4:5]
	s_mul_i32 s9, s9, 24
	s_mul_hi_u32 s10, s8, 24
	s_mul_i32 s8, s8, 24
	s_add_i32 s9, s10, s9
	v_mov_b32_e32 v2, s9
	v_add_co_u32_e32 v4, vcc, s8, v0
	v_addc_co_u32_e32 v5, vcc, v1, v2, vcc
	global_store_dwordx2 v[4:5], v[14:15], off
	s_waitcnt vmcnt(0)
	global_atomic_cmpswap_x2 v[2:3], v6, v[12:15], s[2:3] offset:32 glc
	s_waitcnt vmcnt(0)
	v_cmp_ne_u64_e32 vcc, v[2:3], v[14:15]
	s_and_saveexec_b64 s[8:9], vcc
	s_cbranch_execz .LBB15_287
; %bb.285:
	s_mov_b64 s[10:11], 0
.LBB15_286:                             ; =>This Inner Loop Header: Depth=1
	s_sleep 1
	global_store_dwordx2 v[4:5], v[2:3], off
	v_mov_b32_e32 v0, s4
	v_mov_b32_e32 v1, s5
	s_waitcnt vmcnt(0)
	global_atomic_cmpswap_x2 v[0:1], v6, v[0:3], s[2:3] offset:32 glc
	s_waitcnt vmcnt(0)
	v_cmp_eq_u64_e32 vcc, v[0:1], v[2:3]
	v_mov_b32_e32 v3, v1
	s_or_b64 s[10:11], vcc, s[10:11]
	v_mov_b32_e32 v2, v0
	s_andn2_b64 exec, exec, s[10:11]
	s_cbranch_execnz .LBB15_286
.LBB15_287:
	s_or_b64 exec, exec, s[8:9]
	v_mov_b32_e32 v3, 0
	global_load_dwordx2 v[0:1], v3, s[2:3] offset:16
	s_mov_b64 s[8:9], exec
	v_mbcnt_lo_u32_b32 v2, s8, 0
	v_mbcnt_hi_u32_b32 v2, s9, v2
	v_cmp_eq_u32_e32 vcc, 0, v2
	s_and_saveexec_b64 s[10:11], vcc
	s_cbranch_execz .LBB15_289
; %bb.288:
	s_bcnt1_i32_b64 s8, s[8:9]
	v_mov_b32_e32 v2, s8
	s_waitcnt vmcnt(0)
	global_atomic_add_x2 v[0:1], v[2:3], off offset:8
.LBB15_289:
	s_or_b64 exec, exec, s[10:11]
	s_waitcnt vmcnt(0)
	global_load_dwordx2 v[2:3], v[0:1], off offset:16
	s_waitcnt vmcnt(0)
	v_cmp_eq_u64_e32 vcc, 0, v[2:3]
	s_cbranch_vccnz .LBB15_291
; %bb.290:
	global_load_dword v0, v[0:1], off offset:24
	v_mov_b32_e32 v1, 0
	s_waitcnt vmcnt(0)
	v_readfirstlane_b32 s8, v0
	s_and_b32 m0, s8, 0xffffff
	global_store_dwordx2 v[2:3], v[0:1], off
	s_sendmsg sendmsg(MSG_INTERRUPT)
.LBB15_291:
	s_or_b64 exec, exec, s[6:7]
	s_branch .LBB15_295
.LBB15_292:                             ;   in Loop: Header=BB15_295 Depth=1
	s_or_b64 exec, exec, s[6:7]
	v_readfirstlane_b32 s6, v0
	s_cmp_eq_u32 s6, 0
	s_cbranch_scc1 .LBB15_294
; %bb.293:                              ;   in Loop: Header=BB15_295 Depth=1
	s_sleep 1
	s_cbranch_execnz .LBB15_295
	s_branch .LBB15_297
.LBB15_294:
	s_branch .LBB15_297
.LBB15_295:                             ; =>This Inner Loop Header: Depth=1
	v_mov_b32_e32 v0, 1
	s_and_saveexec_b64 s[6:7], s[0:1]
	s_cbranch_execz .LBB15_292
; %bb.296:                              ;   in Loop: Header=BB15_295 Depth=1
	global_load_dword v0, v[8:9], off offset:20 glc
	s_waitcnt vmcnt(0)
	buffer_wbinvl1_vol
	v_and_b32_e32 v0, 1, v0
	s_branch .LBB15_292
.LBB15_297:
	global_load_dwordx2 v[0:1], v[10:11], off
	s_and_saveexec_b64 s[6:7], s[0:1]
	s_cbranch_execz .LBB15_300
; %bb.298:
	v_mov_b32_e32 v8, 0
	global_load_dwordx2 v[2:3], v8, s[2:3] offset:40
	global_load_dwordx2 v[11:12], v8, s[2:3] offset:24 glc
	global_load_dwordx2 v[4:5], v8, s[2:3]
	s_waitcnt vmcnt(2)
	v_readfirstlane_b32 s8, v2
	v_readfirstlane_b32 s9, v3
	s_add_u32 s10, s8, 1
	s_addc_u32 s11, s9, 0
	s_add_u32 s0, s10, s4
	s_addc_u32 s1, s11, s5
	s_cmp_eq_u64 s[0:1], 0
	s_cselect_b32 s1, s11, s1
	s_cselect_b32 s0, s10, s0
	s_and_b64 s[4:5], s[0:1], s[8:9]
	s_mul_i32 s5, s5, 24
	s_mul_hi_u32 s8, s4, 24
	s_mul_i32 s4, s4, 24
	s_add_i32 s5, s8, s5
	v_mov_b32_e32 v2, s5
	s_waitcnt vmcnt(0)
	v_add_co_u32_e32 v6, vcc, s4, v4
	v_addc_co_u32_e32 v7, vcc, v5, v2, vcc
	v_mov_b32_e32 v9, s0
	global_store_dwordx2 v[6:7], v[11:12], off
	v_mov_b32_e32 v10, s1
	s_waitcnt vmcnt(0)
	global_atomic_cmpswap_x2 v[4:5], v8, v[9:12], s[2:3] offset:24 glc
	s_mov_b64 s[4:5], 0
	s_waitcnt vmcnt(0)
	v_cmp_ne_u64_e32 vcc, v[4:5], v[11:12]
	s_and_b64 exec, exec, vcc
	s_cbranch_execz .LBB15_300
.LBB15_299:                             ; =>This Inner Loop Header: Depth=1
	s_sleep 1
	global_store_dwordx2 v[6:7], v[4:5], off
	v_mov_b32_e32 v2, s0
	v_mov_b32_e32 v3, s1
	s_waitcnt vmcnt(0)
	global_atomic_cmpswap_x2 v[2:3], v8, v[2:5], s[2:3] offset:24 glc
	s_waitcnt vmcnt(0)
	v_cmp_eq_u64_e32 vcc, v[2:3], v[4:5]
	v_mov_b32_e32 v5, v3
	s_or_b64 s[4:5], vcc, s[4:5]
	v_mov_b32_e32 v4, v2
	s_andn2_b64 exec, exec, s[4:5]
	s_cbranch_execnz .LBB15_299
.LBB15_300:
	s_or_b64 exec, exec, s[6:7]
.LBB15_301:
	s_getpc_b64 s[4:5]
	s_add_u32 s4, s4, __FUNCTION__._ZN9rocsparseL38csr2csr_compress_use_warp_start_deviceILj256ELj32ELj2EfEEvi21rocsparse_index_base_PKT2_PKiS1_PS2_PiPKjS2_@rel32@lo+4
	s_addc_u32 s5, s5, __FUNCTION__._ZN9rocsparseL38csr2csr_compress_use_warp_start_deviceILj256ELj32ELj2EfEEvi21rocsparse_index_base_PKT2_PKiS1_PS2_PiPKjS2_@rel32@hi+12
	s_cmp_lg_u64 s[4:5], 0
	s_cbranch_scc0 .LBB15_386
; %bb.302:
	s_waitcnt vmcnt(0)
	v_and_b32_e32 v29, 2, v0
	v_mov_b32_e32 v26, 0
	v_and_b32_e32 v2, -3, v0
	v_mov_b32_e32 v3, v1
	s_mov_b64 s[6:7], 39
	v_mov_b32_e32 v8, 2
	v_mov_b32_e32 v9, 1
	s_branch .LBB15_304
.LBB15_303:                             ;   in Loop: Header=BB15_304 Depth=1
	s_or_b64 exec, exec, s[12:13]
	s_sub_u32 s6, s6, s8
	s_subb_u32 s7, s7, s9
	s_add_u32 s4, s4, s8
	s_addc_u32 s5, s5, s9
	s_cmp_lg_u64 s[6:7], 0
	s_cbranch_scc0 .LBB15_387
.LBB15_304:                             ; =>This Loop Header: Depth=1
                                        ;     Child Loop BB15_307 Depth 2
                                        ;     Child Loop BB15_315 Depth 2
	;; [unrolled: 1-line block ×11, first 2 shown]
	v_cmp_lt_u64_e64 s[0:1], s[6:7], 56
	v_cmp_gt_u64_e64 s[10:11], s[6:7], 7
	s_and_b64 s[0:1], s[0:1], exec
	s_cselect_b32 s9, s7, 0
	s_cselect_b32 s8, s6, 56
	s_add_u32 s0, s4, 8
	s_addc_u32 s1, s5, 0
	s_and_b64 vcc, exec, s[10:11]
	s_cbranch_vccnz .LBB15_308
; %bb.305:                              ;   in Loop: Header=BB15_304 Depth=1
	s_cmp_eq_u64 s[6:7], 0
	s_cbranch_scc1 .LBB15_309
; %bb.306:                              ;   in Loop: Header=BB15_304 Depth=1
	v_mov_b32_e32 v4, 0
	s_lshl_b64 s[0:1], s[8:9], 3
	s_mov_b64 s[10:11], 0
	v_mov_b32_e32 v5, 0
	s_mov_b64 s[12:13], s[4:5]
.LBB15_307:                             ;   Parent Loop BB15_304 Depth=1
                                        ; =>  This Inner Loop Header: Depth=2
	global_load_ubyte v6, v26, s[12:13]
	s_waitcnt vmcnt(0)
	v_and_b32_e32 v25, 0xffff, v6
	v_lshlrev_b64 v[6:7], s10, v[25:26]
	s_add_u32 s10, s10, 8
	s_addc_u32 s11, s11, 0
	s_add_u32 s12, s12, 1
	s_addc_u32 s13, s13, 0
	v_or_b32_e32 v4, v6, v4
	s_cmp_lg_u32 s0, s10
	v_or_b32_e32 v5, v7, v5
	s_cbranch_scc1 .LBB15_307
	s_branch .LBB15_310
.LBB15_308:                             ;   in Loop: Header=BB15_304 Depth=1
	s_mov_b32 s14, 0
	s_branch .LBB15_311
.LBB15_309:                             ;   in Loop: Header=BB15_304 Depth=1
	v_mov_b32_e32 v4, 0
	v_mov_b32_e32 v5, 0
.LBB15_310:                             ;   in Loop: Header=BB15_304 Depth=1
	s_mov_b64 s[0:1], s[4:5]
	s_mov_b32 s14, 0
	s_cbranch_execnz .LBB15_312
.LBB15_311:                             ;   in Loop: Header=BB15_304 Depth=1
	global_load_dwordx2 v[4:5], v26, s[4:5]
	s_add_i32 s14, s8, -8
.LBB15_312:                             ;   in Loop: Header=BB15_304 Depth=1
	s_add_u32 s10, s0, 8
	s_addc_u32 s11, s1, 0
	s_cmp_gt_u32 s14, 7
	s_cbranch_scc1 .LBB15_316
; %bb.313:                              ;   in Loop: Header=BB15_304 Depth=1
	s_cmp_eq_u32 s14, 0
	s_cbranch_scc1 .LBB15_317
; %bb.314:                              ;   in Loop: Header=BB15_304 Depth=1
	v_mov_b32_e32 v10, 0
	s_mov_b64 s[10:11], 0
	v_mov_b32_e32 v11, 0
	s_mov_b64 s[12:13], 0
.LBB15_315:                             ;   Parent Loop BB15_304 Depth=1
                                        ; =>  This Inner Loop Header: Depth=2
	s_add_u32 s16, s0, s12
	s_addc_u32 s17, s1, s13
	global_load_ubyte v6, v26, s[16:17]
	s_add_u32 s12, s12, 1
	s_addc_u32 s13, s13, 0
	s_waitcnt vmcnt(0)
	v_and_b32_e32 v25, 0xffff, v6
	v_lshlrev_b64 v[6:7], s10, v[25:26]
	s_add_u32 s10, s10, 8
	s_addc_u32 s11, s11, 0
	v_or_b32_e32 v10, v6, v10
	s_cmp_lg_u32 s14, s12
	v_or_b32_e32 v11, v7, v11
	s_cbranch_scc1 .LBB15_315
	s_branch .LBB15_318
.LBB15_316:                             ;   in Loop: Header=BB15_304 Depth=1
                                        ; implicit-def: $vgpr10_vgpr11
	s_mov_b32 s15, 0
	s_branch .LBB15_319
.LBB15_317:                             ;   in Loop: Header=BB15_304 Depth=1
	v_mov_b32_e32 v10, 0
	v_mov_b32_e32 v11, 0
.LBB15_318:                             ;   in Loop: Header=BB15_304 Depth=1
	s_mov_b64 s[10:11], s[0:1]
	s_mov_b32 s15, 0
	s_cbranch_execnz .LBB15_320
.LBB15_319:                             ;   in Loop: Header=BB15_304 Depth=1
	global_load_dwordx2 v[10:11], v26, s[0:1]
	s_add_i32 s15, s14, -8
.LBB15_320:                             ;   in Loop: Header=BB15_304 Depth=1
	s_add_u32 s0, s10, 8
	s_addc_u32 s1, s11, 0
	s_cmp_gt_u32 s15, 7
	s_cbranch_scc1 .LBB15_324
; %bb.321:                              ;   in Loop: Header=BB15_304 Depth=1
	s_cmp_eq_u32 s15, 0
	s_cbranch_scc1 .LBB15_325
; %bb.322:                              ;   in Loop: Header=BB15_304 Depth=1
	v_mov_b32_e32 v12, 0
	s_mov_b64 s[0:1], 0
	v_mov_b32_e32 v13, 0
	s_mov_b64 s[12:13], 0
.LBB15_323:                             ;   Parent Loop BB15_304 Depth=1
                                        ; =>  This Inner Loop Header: Depth=2
	s_add_u32 s16, s10, s12
	s_addc_u32 s17, s11, s13
	global_load_ubyte v6, v26, s[16:17]
	s_add_u32 s12, s12, 1
	s_addc_u32 s13, s13, 0
	s_waitcnt vmcnt(0)
	v_and_b32_e32 v25, 0xffff, v6
	v_lshlrev_b64 v[6:7], s0, v[25:26]
	s_add_u32 s0, s0, 8
	s_addc_u32 s1, s1, 0
	v_or_b32_e32 v12, v6, v12
	s_cmp_lg_u32 s15, s12
	v_or_b32_e32 v13, v7, v13
	s_cbranch_scc1 .LBB15_323
	s_branch .LBB15_326
.LBB15_324:                             ;   in Loop: Header=BB15_304 Depth=1
	s_mov_b32 s14, 0
	s_branch .LBB15_327
.LBB15_325:                             ;   in Loop: Header=BB15_304 Depth=1
	v_mov_b32_e32 v12, 0
	v_mov_b32_e32 v13, 0
.LBB15_326:                             ;   in Loop: Header=BB15_304 Depth=1
	s_mov_b64 s[0:1], s[10:11]
	s_mov_b32 s14, 0
	s_cbranch_execnz .LBB15_328
.LBB15_327:                             ;   in Loop: Header=BB15_304 Depth=1
	global_load_dwordx2 v[12:13], v26, s[10:11]
	s_add_i32 s14, s15, -8
.LBB15_328:                             ;   in Loop: Header=BB15_304 Depth=1
	s_add_u32 s10, s0, 8
	s_addc_u32 s11, s1, 0
	s_cmp_gt_u32 s14, 7
	s_cbranch_scc1 .LBB15_332
; %bb.329:                              ;   in Loop: Header=BB15_304 Depth=1
	s_cmp_eq_u32 s14, 0
	s_cbranch_scc1 .LBB15_333
; %bb.330:                              ;   in Loop: Header=BB15_304 Depth=1
	v_mov_b32_e32 v14, 0
	s_mov_b64 s[10:11], 0
	v_mov_b32_e32 v15, 0
	s_mov_b64 s[12:13], 0
.LBB15_331:                             ;   Parent Loop BB15_304 Depth=1
                                        ; =>  This Inner Loop Header: Depth=2
	s_add_u32 s16, s0, s12
	s_addc_u32 s17, s1, s13
	global_load_ubyte v6, v26, s[16:17]
	s_add_u32 s12, s12, 1
	s_addc_u32 s13, s13, 0
	s_waitcnt vmcnt(0)
	v_and_b32_e32 v25, 0xffff, v6
	v_lshlrev_b64 v[6:7], s10, v[25:26]
	s_add_u32 s10, s10, 8
	s_addc_u32 s11, s11, 0
	v_or_b32_e32 v14, v6, v14
	s_cmp_lg_u32 s14, s12
	v_or_b32_e32 v15, v7, v15
	s_cbranch_scc1 .LBB15_331
	s_branch .LBB15_334
.LBB15_332:                             ;   in Loop: Header=BB15_304 Depth=1
                                        ; implicit-def: $vgpr14_vgpr15
	s_mov_b32 s15, 0
	s_branch .LBB15_335
.LBB15_333:                             ;   in Loop: Header=BB15_304 Depth=1
	v_mov_b32_e32 v14, 0
	v_mov_b32_e32 v15, 0
.LBB15_334:                             ;   in Loop: Header=BB15_304 Depth=1
	s_mov_b64 s[10:11], s[0:1]
	s_mov_b32 s15, 0
	s_cbranch_execnz .LBB15_336
.LBB15_335:                             ;   in Loop: Header=BB15_304 Depth=1
	global_load_dwordx2 v[14:15], v26, s[0:1]
	s_add_i32 s15, s14, -8
.LBB15_336:                             ;   in Loop: Header=BB15_304 Depth=1
	s_add_u32 s0, s10, 8
	s_addc_u32 s1, s11, 0
	s_cmp_gt_u32 s15, 7
	s_cbranch_scc1 .LBB15_340
; %bb.337:                              ;   in Loop: Header=BB15_304 Depth=1
	s_cmp_eq_u32 s15, 0
	s_cbranch_scc1 .LBB15_341
; %bb.338:                              ;   in Loop: Header=BB15_304 Depth=1
	v_mov_b32_e32 v16, 0
	s_mov_b64 s[0:1], 0
	v_mov_b32_e32 v17, 0
	s_mov_b64 s[12:13], 0
.LBB15_339:                             ;   Parent Loop BB15_304 Depth=1
                                        ; =>  This Inner Loop Header: Depth=2
	s_add_u32 s16, s10, s12
	s_addc_u32 s17, s11, s13
	global_load_ubyte v6, v26, s[16:17]
	s_add_u32 s12, s12, 1
	s_addc_u32 s13, s13, 0
	s_waitcnt vmcnt(0)
	v_and_b32_e32 v25, 0xffff, v6
	v_lshlrev_b64 v[6:7], s0, v[25:26]
	s_add_u32 s0, s0, 8
	s_addc_u32 s1, s1, 0
	v_or_b32_e32 v16, v6, v16
	s_cmp_lg_u32 s15, s12
	v_or_b32_e32 v17, v7, v17
	s_cbranch_scc1 .LBB15_339
	s_branch .LBB15_342
.LBB15_340:                             ;   in Loop: Header=BB15_304 Depth=1
	s_mov_b32 s14, 0
	s_branch .LBB15_343
.LBB15_341:                             ;   in Loop: Header=BB15_304 Depth=1
	v_mov_b32_e32 v16, 0
	v_mov_b32_e32 v17, 0
.LBB15_342:                             ;   in Loop: Header=BB15_304 Depth=1
	s_mov_b64 s[0:1], s[10:11]
	s_mov_b32 s14, 0
	s_cbranch_execnz .LBB15_344
.LBB15_343:                             ;   in Loop: Header=BB15_304 Depth=1
	global_load_dwordx2 v[16:17], v26, s[10:11]
	s_add_i32 s14, s15, -8
.LBB15_344:                             ;   in Loop: Header=BB15_304 Depth=1
	s_add_u32 s10, s0, 8
	s_addc_u32 s11, s1, 0
	s_cmp_gt_u32 s14, 7
	s_cbranch_scc1 .LBB15_348
; %bb.345:                              ;   in Loop: Header=BB15_304 Depth=1
	s_cmp_eq_u32 s14, 0
	s_cbranch_scc1 .LBB15_349
; %bb.346:                              ;   in Loop: Header=BB15_304 Depth=1
	v_mov_b32_e32 v18, 0
	s_mov_b64 s[10:11], 0
	v_mov_b32_e32 v19, 0
	s_mov_b64 s[12:13], 0
.LBB15_347:                             ;   Parent Loop BB15_304 Depth=1
                                        ; =>  This Inner Loop Header: Depth=2
	s_add_u32 s16, s0, s12
	s_addc_u32 s17, s1, s13
	global_load_ubyte v6, v26, s[16:17]
	s_add_u32 s12, s12, 1
	s_addc_u32 s13, s13, 0
	s_waitcnt vmcnt(0)
	v_and_b32_e32 v25, 0xffff, v6
	v_lshlrev_b64 v[6:7], s10, v[25:26]
	s_add_u32 s10, s10, 8
	s_addc_u32 s11, s11, 0
	v_or_b32_e32 v18, v6, v18
	s_cmp_lg_u32 s14, s12
	v_or_b32_e32 v19, v7, v19
	s_cbranch_scc1 .LBB15_347
	s_branch .LBB15_350
.LBB15_348:                             ;   in Loop: Header=BB15_304 Depth=1
                                        ; implicit-def: $vgpr18_vgpr19
	s_mov_b32 s15, 0
	s_branch .LBB15_351
.LBB15_349:                             ;   in Loop: Header=BB15_304 Depth=1
	v_mov_b32_e32 v18, 0
	v_mov_b32_e32 v19, 0
.LBB15_350:                             ;   in Loop: Header=BB15_304 Depth=1
	s_mov_b64 s[10:11], s[0:1]
	s_mov_b32 s15, 0
	s_cbranch_execnz .LBB15_352
.LBB15_351:                             ;   in Loop: Header=BB15_304 Depth=1
	global_load_dwordx2 v[18:19], v26, s[0:1]
	s_add_i32 s15, s14, -8
.LBB15_352:                             ;   in Loop: Header=BB15_304 Depth=1
	s_cmp_gt_u32 s15, 7
	s_cbranch_scc1 .LBB15_356
; %bb.353:                              ;   in Loop: Header=BB15_304 Depth=1
	s_cmp_eq_u32 s15, 0
	s_cbranch_scc1 .LBB15_357
; %bb.354:                              ;   in Loop: Header=BB15_304 Depth=1
	v_mov_b32_e32 v20, 0
	s_mov_b64 s[0:1], 0
	v_mov_b32_e32 v21, 0
	s_mov_b64 s[12:13], s[10:11]
.LBB15_355:                             ;   Parent Loop BB15_304 Depth=1
                                        ; =>  This Inner Loop Header: Depth=2
	global_load_ubyte v6, v26, s[12:13]
	s_add_i32 s15, s15, -1
	s_waitcnt vmcnt(0)
	v_and_b32_e32 v25, 0xffff, v6
	v_lshlrev_b64 v[6:7], s0, v[25:26]
	s_add_u32 s0, s0, 8
	s_addc_u32 s1, s1, 0
	s_add_u32 s12, s12, 1
	s_addc_u32 s13, s13, 0
	v_or_b32_e32 v20, v6, v20
	s_cmp_lg_u32 s15, 0
	v_or_b32_e32 v21, v7, v21
	s_cbranch_scc1 .LBB15_355
	s_branch .LBB15_358
.LBB15_356:                             ;   in Loop: Header=BB15_304 Depth=1
	s_branch .LBB15_359
.LBB15_357:                             ;   in Loop: Header=BB15_304 Depth=1
	v_mov_b32_e32 v20, 0
	v_mov_b32_e32 v21, 0
.LBB15_358:                             ;   in Loop: Header=BB15_304 Depth=1
	s_cbranch_execnz .LBB15_360
.LBB15_359:                             ;   in Loop: Header=BB15_304 Depth=1
	global_load_dwordx2 v[20:21], v26, s[10:11]
.LBB15_360:                             ;   in Loop: Header=BB15_304 Depth=1
	v_readfirstlane_b32 s0, v32
	v_mov_b32_e32 v6, 0
	v_mov_b32_e32 v7, 0
	v_cmp_eq_u32_e64 s[0:1], s0, v32
	s_and_saveexec_b64 s[10:11], s[0:1]
	s_cbranch_execz .LBB15_366
; %bb.361:                              ;   in Loop: Header=BB15_304 Depth=1
	global_load_dwordx2 v[24:25], v26, s[2:3] offset:24 glc
	s_waitcnt vmcnt(0)
	buffer_wbinvl1_vol
	global_load_dwordx2 v[6:7], v26, s[2:3] offset:40
	global_load_dwordx2 v[22:23], v26, s[2:3]
	s_waitcnt vmcnt(1)
	v_and_b32_e32 v6, v6, v24
	v_and_b32_e32 v7, v7, v25
	v_mul_lo_u32 v7, v7, 24
	v_mul_hi_u32 v27, v6, 24
	v_mul_lo_u32 v6, v6, 24
	v_add_u32_e32 v7, v27, v7
	s_waitcnt vmcnt(0)
	v_add_co_u32_e32 v6, vcc, v22, v6
	v_addc_co_u32_e32 v7, vcc, v23, v7, vcc
	global_load_dwordx2 v[22:23], v[6:7], off glc
	s_waitcnt vmcnt(0)
	global_atomic_cmpswap_x2 v[6:7], v26, v[22:25], s[2:3] offset:24 glc
	s_waitcnt vmcnt(0)
	buffer_wbinvl1_vol
	v_cmp_ne_u64_e32 vcc, v[6:7], v[24:25]
	s_and_saveexec_b64 s[12:13], vcc
	s_cbranch_execz .LBB15_365
; %bb.362:                              ;   in Loop: Header=BB15_304 Depth=1
	s_mov_b64 s[14:15], 0
.LBB15_363:                             ;   Parent Loop BB15_304 Depth=1
                                        ; =>  This Inner Loop Header: Depth=2
	s_sleep 1
	global_load_dwordx2 v[22:23], v26, s[2:3] offset:40
	global_load_dwordx2 v[27:28], v26, s[2:3]
	v_mov_b32_e32 v25, v7
	v_mov_b32_e32 v24, v6
	s_waitcnt vmcnt(1)
	v_and_b32_e32 v6, v22, v24
	s_waitcnt vmcnt(0)
	v_mad_u64_u32 v[6:7], s[16:17], v6, 24, v[27:28]
	v_and_b32_e32 v22, v23, v25
	v_mad_u64_u32 v[22:23], s[16:17], v22, 24, v[7:8]
	v_mov_b32_e32 v7, v22
	global_load_dwordx2 v[22:23], v[6:7], off glc
	s_waitcnt vmcnt(0)
	global_atomic_cmpswap_x2 v[6:7], v26, v[22:25], s[2:3] offset:24 glc
	s_waitcnt vmcnt(0)
	buffer_wbinvl1_vol
	v_cmp_eq_u64_e32 vcc, v[6:7], v[24:25]
	s_or_b64 s[14:15], vcc, s[14:15]
	s_andn2_b64 exec, exec, s[14:15]
	s_cbranch_execnz .LBB15_363
; %bb.364:                              ;   in Loop: Header=BB15_304 Depth=1
	s_or_b64 exec, exec, s[14:15]
.LBB15_365:                             ;   in Loop: Header=BB15_304 Depth=1
	s_or_b64 exec, exec, s[12:13]
.LBB15_366:                             ;   in Loop: Header=BB15_304 Depth=1
	s_or_b64 exec, exec, s[10:11]
	global_load_dwordx2 v[27:28], v26, s[2:3] offset:40
	global_load_dwordx4 v[22:25], v26, s[2:3]
	v_readfirstlane_b32 s11, v7
	v_readfirstlane_b32 s10, v6
	s_mov_b64 s[12:13], exec
	s_waitcnt vmcnt(1)
	v_readfirstlane_b32 s14, v27
	v_readfirstlane_b32 s15, v28
	s_and_b64 s[14:15], s[14:15], s[10:11]
	s_mul_i32 s16, s15, 24
	s_mul_hi_u32 s17, s14, 24
	s_mul_i32 s18, s14, 24
	s_add_i32 s16, s17, s16
	v_mov_b32_e32 v6, s16
	s_waitcnt vmcnt(0)
	v_add_co_u32_e32 v27, vcc, s18, v22
	v_addc_co_u32_e32 v28, vcc, v23, v6, vcc
	s_and_saveexec_b64 s[16:17], s[0:1]
	s_cbranch_execz .LBB15_368
; %bb.367:                              ;   in Loop: Header=BB15_304 Depth=1
	v_mov_b32_e32 v6, s12
	v_mov_b32_e32 v7, s13
	global_store_dwordx4 v[27:28], v[6:9], off offset:8
.LBB15_368:                             ;   in Loop: Header=BB15_304 Depth=1
	s_or_b64 exec, exec, s[16:17]
	s_lshl_b64 s[12:13], s[14:15], 12
	v_mov_b32_e32 v6, s13
	v_add_co_u32_e32 v24, vcc, s12, v24
	v_addc_co_u32_e32 v30, vcc, v25, v6, vcc
	v_cmp_lt_u64_e64 vcc, s[6:7], 57
	s_lshl_b32 s12, s8, 2
	v_cndmask_b32_e32 v6, 0, v29, vcc
	s_add_i32 s12, s12, 28
	v_and_b32_e32 v2, 0xffffff1f, v2
	s_and_b32 s12, s12, 0x1e0
	v_or_b32_e32 v2, v2, v6
	v_or_b32_e32 v2, s12, v2
	v_readfirstlane_b32 s12, v24
	v_readfirstlane_b32 s13, v30
	s_nop 4
	global_store_dwordx4 v31, v[2:5], s[12:13]
	global_store_dwordx4 v31, v[10:13], s[12:13] offset:16
	global_store_dwordx4 v31, v[14:17], s[12:13] offset:32
	;; [unrolled: 1-line block ×3, first 2 shown]
	s_and_saveexec_b64 s[12:13], s[0:1]
	s_cbranch_execz .LBB15_376
; %bb.369:                              ;   in Loop: Header=BB15_304 Depth=1
	global_load_dwordx2 v[12:13], v26, s[2:3] offset:32 glc
	global_load_dwordx2 v[2:3], v26, s[2:3] offset:40
	v_mov_b32_e32 v10, s10
	v_mov_b32_e32 v11, s11
	s_waitcnt vmcnt(0)
	v_readfirstlane_b32 s14, v2
	v_readfirstlane_b32 s15, v3
	s_and_b64 s[14:15], s[14:15], s[10:11]
	s_mul_i32 s15, s15, 24
	s_mul_hi_u32 s16, s14, 24
	s_mul_i32 s14, s14, 24
	s_add_i32 s15, s16, s15
	v_mov_b32_e32 v2, s15
	v_add_co_u32_e32 v6, vcc, s14, v22
	v_addc_co_u32_e32 v7, vcc, v23, v2, vcc
	global_store_dwordx2 v[6:7], v[12:13], off
	s_waitcnt vmcnt(0)
	global_atomic_cmpswap_x2 v[4:5], v26, v[10:13], s[2:3] offset:32 glc
	s_waitcnt vmcnt(0)
	v_cmp_ne_u64_e32 vcc, v[4:5], v[12:13]
	s_and_saveexec_b64 s[14:15], vcc
	s_cbranch_execz .LBB15_372
; %bb.370:                              ;   in Loop: Header=BB15_304 Depth=1
	s_mov_b64 s[16:17], 0
.LBB15_371:                             ;   Parent Loop BB15_304 Depth=1
                                        ; =>  This Inner Loop Header: Depth=2
	s_sleep 1
	global_store_dwordx2 v[6:7], v[4:5], off
	v_mov_b32_e32 v2, s10
	v_mov_b32_e32 v3, s11
	s_waitcnt vmcnt(0)
	global_atomic_cmpswap_x2 v[2:3], v26, v[2:5], s[2:3] offset:32 glc
	s_waitcnt vmcnt(0)
	v_cmp_eq_u64_e32 vcc, v[2:3], v[4:5]
	v_mov_b32_e32 v5, v3
	s_or_b64 s[16:17], vcc, s[16:17]
	v_mov_b32_e32 v4, v2
	s_andn2_b64 exec, exec, s[16:17]
	s_cbranch_execnz .LBB15_371
.LBB15_372:                             ;   in Loop: Header=BB15_304 Depth=1
	s_or_b64 exec, exec, s[14:15]
	global_load_dwordx2 v[2:3], v26, s[2:3] offset:16
	s_mov_b64 s[16:17], exec
	v_mbcnt_lo_u32_b32 v4, s16, 0
	v_mbcnt_hi_u32_b32 v4, s17, v4
	v_cmp_eq_u32_e32 vcc, 0, v4
	s_and_saveexec_b64 s[14:15], vcc
	s_cbranch_execz .LBB15_374
; %bb.373:                              ;   in Loop: Header=BB15_304 Depth=1
	s_bcnt1_i32_b64 s16, s[16:17]
	v_mov_b32_e32 v25, s16
	s_waitcnt vmcnt(0)
	global_atomic_add_x2 v[2:3], v[25:26], off offset:8
.LBB15_374:                             ;   in Loop: Header=BB15_304 Depth=1
	s_or_b64 exec, exec, s[14:15]
	s_waitcnt vmcnt(0)
	global_load_dwordx2 v[4:5], v[2:3], off offset:16
	s_waitcnt vmcnt(0)
	v_cmp_eq_u64_e32 vcc, 0, v[4:5]
	s_cbranch_vccnz .LBB15_376
; %bb.375:                              ;   in Loop: Header=BB15_304 Depth=1
	global_load_dword v25, v[2:3], off offset:24
	s_waitcnt vmcnt(0)
	v_readfirstlane_b32 s14, v25
	s_and_b32 m0, s14, 0xffffff
	global_store_dwordx2 v[4:5], v[25:26], off
	s_sendmsg sendmsg(MSG_INTERRUPT)
.LBB15_376:                             ;   in Loop: Header=BB15_304 Depth=1
	s_or_b64 exec, exec, s[12:13]
	v_add_co_u32_e32 v2, vcc, v24, v31
	v_addc_co_u32_e32 v3, vcc, 0, v30, vcc
	s_branch .LBB15_380
.LBB15_377:                             ;   in Loop: Header=BB15_380 Depth=2
	s_or_b64 exec, exec, s[12:13]
	v_readfirstlane_b32 s12, v4
	s_cmp_eq_u32 s12, 0
	s_cbranch_scc1 .LBB15_379
; %bb.378:                              ;   in Loop: Header=BB15_380 Depth=2
	s_sleep 1
	s_cbranch_execnz .LBB15_380
	s_branch .LBB15_382
.LBB15_379:                             ;   in Loop: Header=BB15_304 Depth=1
	s_branch .LBB15_382
.LBB15_380:                             ;   Parent Loop BB15_304 Depth=1
                                        ; =>  This Inner Loop Header: Depth=2
	v_mov_b32_e32 v4, 1
	s_and_saveexec_b64 s[12:13], s[0:1]
	s_cbranch_execz .LBB15_377
; %bb.381:                              ;   in Loop: Header=BB15_380 Depth=2
	global_load_dword v4, v[27:28], off offset:20 glc
	s_waitcnt vmcnt(0)
	buffer_wbinvl1_vol
	v_and_b32_e32 v4, 1, v4
	s_branch .LBB15_377
.LBB15_382:                             ;   in Loop: Header=BB15_304 Depth=1
	global_load_dwordx2 v[2:3], v[2:3], off
	s_and_saveexec_b64 s[12:13], s[0:1]
	s_cbranch_execz .LBB15_303
; %bb.383:                              ;   in Loop: Header=BB15_304 Depth=1
	global_load_dwordx2 v[4:5], v26, s[2:3] offset:40
	global_load_dwordx2 v[14:15], v26, s[2:3] offset:24 glc
	global_load_dwordx2 v[6:7], v26, s[2:3]
	s_waitcnt vmcnt(2)
	v_readfirstlane_b32 s14, v4
	v_readfirstlane_b32 s15, v5
	s_add_u32 s16, s14, 1
	s_addc_u32 s17, s15, 0
	s_add_u32 s0, s16, s10
	s_addc_u32 s1, s17, s11
	s_cmp_eq_u64 s[0:1], 0
	s_cselect_b32 s1, s17, s1
	s_cselect_b32 s0, s16, s0
	s_and_b64 s[10:11], s[0:1], s[14:15]
	s_mul_i32 s11, s11, 24
	s_mul_hi_u32 s14, s10, 24
	s_mul_i32 s10, s10, 24
	s_add_i32 s11, s14, s11
	v_mov_b32_e32 v4, s11
	s_waitcnt vmcnt(0)
	v_add_co_u32_e32 v10, vcc, s10, v6
	v_addc_co_u32_e32 v11, vcc, v7, v4, vcc
	v_mov_b32_e32 v12, s0
	global_store_dwordx2 v[10:11], v[14:15], off
	v_mov_b32_e32 v13, s1
	s_waitcnt vmcnt(0)
	global_atomic_cmpswap_x2 v[6:7], v26, v[12:15], s[2:3] offset:24 glc
	s_waitcnt vmcnt(0)
	v_cmp_ne_u64_e32 vcc, v[6:7], v[14:15]
	s_and_b64 exec, exec, vcc
	s_cbranch_execz .LBB15_303
; %bb.384:                              ;   in Loop: Header=BB15_304 Depth=1
	s_mov_b64 s[10:11], 0
.LBB15_385:                             ;   Parent Loop BB15_304 Depth=1
                                        ; =>  This Inner Loop Header: Depth=2
	s_sleep 1
	global_store_dwordx2 v[10:11], v[6:7], off
	v_mov_b32_e32 v4, s0
	v_mov_b32_e32 v5, s1
	s_waitcnt vmcnt(0)
	global_atomic_cmpswap_x2 v[4:5], v26, v[4:7], s[2:3] offset:24 glc
	s_waitcnt vmcnt(0)
	v_cmp_eq_u64_e32 vcc, v[4:5], v[6:7]
	v_mov_b32_e32 v7, v5
	s_or_b64 s[10:11], vcc, s[10:11]
	v_mov_b32_e32 v6, v4
	s_andn2_b64 exec, exec, s[10:11]
	s_cbranch_execnz .LBB15_385
	s_branch .LBB15_303
.LBB15_386:
	s_mov_b64 s[0:1], -1
                                        ; implicit-def: $vgpr2_vgpr3
	s_branch .LBB15_388
.LBB15_387:
	s_mov_b64 s[0:1], 0
.LBB15_388:
	s_and_b64 vcc, exec, s[0:1]
	s_cbranch_vccz .LBB15_415
; %bb.389:
	v_readfirstlane_b32 s0, v32
	v_mov_b32_e32 v8, 0
	v_mov_b32_e32 v9, 0
	v_cmp_eq_u32_e64 s[0:1], s0, v32
	s_and_saveexec_b64 s[4:5], s[0:1]
	s_cbranch_execz .LBB15_395
; %bb.390:
	s_waitcnt vmcnt(0)
	v_mov_b32_e32 v2, 0
	global_load_dwordx2 v[5:6], v2, s[2:3] offset:24 glc
	s_waitcnt vmcnt(0)
	buffer_wbinvl1_vol
	global_load_dwordx2 v[3:4], v2, s[2:3] offset:40
	global_load_dwordx2 v[7:8], v2, s[2:3]
	s_waitcnt vmcnt(1)
	v_and_b32_e32 v3, v3, v5
	v_and_b32_e32 v4, v4, v6
	v_mul_lo_u32 v4, v4, 24
	v_mul_hi_u32 v9, v3, 24
	v_mul_lo_u32 v3, v3, 24
	v_add_u32_e32 v4, v9, v4
	s_waitcnt vmcnt(0)
	v_add_co_u32_e32 v3, vcc, v7, v3
	v_addc_co_u32_e32 v4, vcc, v8, v4, vcc
	global_load_dwordx2 v[3:4], v[3:4], off glc
	s_waitcnt vmcnt(0)
	global_atomic_cmpswap_x2 v[8:9], v2, v[3:6], s[2:3] offset:24 glc
	s_waitcnt vmcnt(0)
	buffer_wbinvl1_vol
	v_cmp_ne_u64_e32 vcc, v[8:9], v[5:6]
	s_and_saveexec_b64 s[6:7], vcc
	s_cbranch_execz .LBB15_394
; %bb.391:
	s_mov_b64 s[8:9], 0
.LBB15_392:                             ; =>This Inner Loop Header: Depth=1
	s_sleep 1
	global_load_dwordx2 v[3:4], v2, s[2:3] offset:40
	global_load_dwordx2 v[10:11], v2, s[2:3]
	v_mov_b32_e32 v5, v8
	v_mov_b32_e32 v6, v9
	s_waitcnt vmcnt(1)
	v_and_b32_e32 v3, v3, v5
	s_waitcnt vmcnt(0)
	v_mad_u64_u32 v[7:8], s[10:11], v3, 24, v[10:11]
	v_and_b32_e32 v4, v4, v6
	v_mov_b32_e32 v3, v8
	v_mad_u64_u32 v[3:4], s[10:11], v4, 24, v[3:4]
	v_mov_b32_e32 v8, v3
	global_load_dwordx2 v[3:4], v[7:8], off glc
	s_waitcnt vmcnt(0)
	global_atomic_cmpswap_x2 v[8:9], v2, v[3:6], s[2:3] offset:24 glc
	s_waitcnt vmcnt(0)
	buffer_wbinvl1_vol
	v_cmp_eq_u64_e32 vcc, v[8:9], v[5:6]
	s_or_b64 s[8:9], vcc, s[8:9]
	s_andn2_b64 exec, exec, s[8:9]
	s_cbranch_execnz .LBB15_392
; %bb.393:
	s_or_b64 exec, exec, s[8:9]
.LBB15_394:
	s_or_b64 exec, exec, s[6:7]
.LBB15_395:
	s_or_b64 exec, exec, s[4:5]
	s_waitcnt vmcnt(0)
	v_mov_b32_e32 v2, 0
	global_load_dwordx2 v[10:11], v2, s[2:3] offset:40
	global_load_dwordx4 v[4:7], v2, s[2:3]
	v_readfirstlane_b32 s5, v9
	v_readfirstlane_b32 s4, v8
	s_mov_b64 s[6:7], exec
	s_waitcnt vmcnt(1)
	v_readfirstlane_b32 s8, v10
	v_readfirstlane_b32 s9, v11
	s_and_b64 s[8:9], s[8:9], s[4:5]
	s_mul_i32 s10, s9, 24
	s_mul_hi_u32 s11, s8, 24
	s_mul_i32 s12, s8, 24
	s_add_i32 s10, s11, s10
	v_mov_b32_e32 v3, s10
	s_waitcnt vmcnt(0)
	v_add_co_u32_e32 v8, vcc, s12, v4
	v_addc_co_u32_e32 v9, vcc, v5, v3, vcc
	s_and_saveexec_b64 s[10:11], s[0:1]
	s_cbranch_execz .LBB15_397
; %bb.396:
	v_mov_b32_e32 v11, s7
	v_mov_b32_e32 v10, s6
	;; [unrolled: 1-line block ×4, first 2 shown]
	global_store_dwordx4 v[8:9], v[10:13], off offset:8
.LBB15_397:
	s_or_b64 exec, exec, s[10:11]
	s_lshl_b64 s[6:7], s[8:9], 12
	v_mov_b32_e32 v3, s7
	v_add_co_u32_e32 v10, vcc, s6, v6
	v_addc_co_u32_e32 v11, vcc, v7, v3, vcc
	s_movk_i32 s6, 0xff1f
	v_and_or_b32 v0, v0, s6, 32
	s_mov_b32 s8, 0
	v_mov_b32_e32 v3, v2
	v_readfirstlane_b32 s6, v10
	v_readfirstlane_b32 s7, v11
	v_add_co_u32_e32 v6, vcc, v10, v31
	s_mov_b32 s9, s8
	s_mov_b32 s10, s8
	;; [unrolled: 1-line block ×3, first 2 shown]
	s_nop 0
	global_store_dwordx4 v31, v[0:3], s[6:7]
	v_addc_co_u32_e32 v7, vcc, 0, v11, vcc
	v_mov_b32_e32 v0, s8
	v_mov_b32_e32 v1, s9
	;; [unrolled: 1-line block ×4, first 2 shown]
	global_store_dwordx4 v31, v[0:3], s[6:7] offset:16
	global_store_dwordx4 v31, v[0:3], s[6:7] offset:32
	;; [unrolled: 1-line block ×3, first 2 shown]
	s_and_saveexec_b64 s[6:7], s[0:1]
	s_cbranch_execz .LBB15_405
; %bb.398:
	v_mov_b32_e32 v10, 0
	global_load_dwordx2 v[13:14], v10, s[2:3] offset:32 glc
	global_load_dwordx2 v[0:1], v10, s[2:3] offset:40
	v_mov_b32_e32 v11, s4
	v_mov_b32_e32 v12, s5
	s_waitcnt vmcnt(0)
	v_readfirstlane_b32 s8, v0
	v_readfirstlane_b32 s9, v1
	s_and_b64 s[8:9], s[8:9], s[4:5]
	s_mul_i32 s9, s9, 24
	s_mul_hi_u32 s10, s8, 24
	s_mul_i32 s8, s8, 24
	s_add_i32 s9, s10, s9
	v_mov_b32_e32 v0, s9
	v_add_co_u32_e32 v4, vcc, s8, v4
	v_addc_co_u32_e32 v5, vcc, v5, v0, vcc
	global_store_dwordx2 v[4:5], v[13:14], off
	s_waitcnt vmcnt(0)
	global_atomic_cmpswap_x2 v[2:3], v10, v[11:14], s[2:3] offset:32 glc
	s_waitcnt vmcnt(0)
	v_cmp_ne_u64_e32 vcc, v[2:3], v[13:14]
	s_and_saveexec_b64 s[8:9], vcc
	s_cbranch_execz .LBB15_401
; %bb.399:
	s_mov_b64 s[10:11], 0
.LBB15_400:                             ; =>This Inner Loop Header: Depth=1
	s_sleep 1
	global_store_dwordx2 v[4:5], v[2:3], off
	v_mov_b32_e32 v0, s4
	v_mov_b32_e32 v1, s5
	s_waitcnt vmcnt(0)
	global_atomic_cmpswap_x2 v[0:1], v10, v[0:3], s[2:3] offset:32 glc
	s_waitcnt vmcnt(0)
	v_cmp_eq_u64_e32 vcc, v[0:1], v[2:3]
	v_mov_b32_e32 v3, v1
	s_or_b64 s[10:11], vcc, s[10:11]
	v_mov_b32_e32 v2, v0
	s_andn2_b64 exec, exec, s[10:11]
	s_cbranch_execnz .LBB15_400
.LBB15_401:
	s_or_b64 exec, exec, s[8:9]
	v_mov_b32_e32 v3, 0
	global_load_dwordx2 v[0:1], v3, s[2:3] offset:16
	s_mov_b64 s[8:9], exec
	v_mbcnt_lo_u32_b32 v2, s8, 0
	v_mbcnt_hi_u32_b32 v2, s9, v2
	v_cmp_eq_u32_e32 vcc, 0, v2
	s_and_saveexec_b64 s[10:11], vcc
	s_cbranch_execz .LBB15_403
; %bb.402:
	s_bcnt1_i32_b64 s8, s[8:9]
	v_mov_b32_e32 v2, s8
	s_waitcnt vmcnt(0)
	global_atomic_add_x2 v[0:1], v[2:3], off offset:8
.LBB15_403:
	s_or_b64 exec, exec, s[10:11]
	s_waitcnt vmcnt(0)
	global_load_dwordx2 v[2:3], v[0:1], off offset:16
	s_waitcnt vmcnt(0)
	v_cmp_eq_u64_e32 vcc, 0, v[2:3]
	s_cbranch_vccnz .LBB15_405
; %bb.404:
	global_load_dword v0, v[0:1], off offset:24
	v_mov_b32_e32 v1, 0
	s_waitcnt vmcnt(0)
	v_readfirstlane_b32 s8, v0
	s_and_b32 m0, s8, 0xffffff
	global_store_dwordx2 v[2:3], v[0:1], off
	s_sendmsg sendmsg(MSG_INTERRUPT)
.LBB15_405:
	s_or_b64 exec, exec, s[6:7]
	s_branch .LBB15_409
.LBB15_406:                             ;   in Loop: Header=BB15_409 Depth=1
	s_or_b64 exec, exec, s[6:7]
	v_readfirstlane_b32 s6, v0
	s_cmp_eq_u32 s6, 0
	s_cbranch_scc1 .LBB15_408
; %bb.407:                              ;   in Loop: Header=BB15_409 Depth=1
	s_sleep 1
	s_cbranch_execnz .LBB15_409
	s_branch .LBB15_411
.LBB15_408:
	s_branch .LBB15_411
.LBB15_409:                             ; =>This Inner Loop Header: Depth=1
	v_mov_b32_e32 v0, 1
	s_and_saveexec_b64 s[6:7], s[0:1]
	s_cbranch_execz .LBB15_406
; %bb.410:                              ;   in Loop: Header=BB15_409 Depth=1
	global_load_dword v0, v[8:9], off offset:20 glc
	s_waitcnt vmcnt(0)
	buffer_wbinvl1_vol
	v_and_b32_e32 v0, 1, v0
	s_branch .LBB15_406
.LBB15_411:
	global_load_dwordx2 v[2:3], v[6:7], off
	s_and_saveexec_b64 s[6:7], s[0:1]
	s_cbranch_execz .LBB15_414
; %bb.412:
	v_mov_b32_e32 v8, 0
	global_load_dwordx2 v[0:1], v8, s[2:3] offset:40
	global_load_dwordx2 v[11:12], v8, s[2:3] offset:24 glc
	global_load_dwordx2 v[4:5], v8, s[2:3]
	s_waitcnt vmcnt(2)
	v_readfirstlane_b32 s8, v0
	v_readfirstlane_b32 s9, v1
	s_add_u32 s10, s8, 1
	s_addc_u32 s11, s9, 0
	s_add_u32 s0, s10, s4
	s_addc_u32 s1, s11, s5
	s_cmp_eq_u64 s[0:1], 0
	s_cselect_b32 s1, s11, s1
	s_cselect_b32 s0, s10, s0
	s_and_b64 s[4:5], s[0:1], s[8:9]
	s_mul_i32 s5, s5, 24
	s_mul_hi_u32 s8, s4, 24
	s_mul_i32 s4, s4, 24
	s_add_i32 s5, s8, s5
	v_mov_b32_e32 v1, s5
	s_waitcnt vmcnt(0)
	v_add_co_u32_e32 v0, vcc, s4, v4
	v_addc_co_u32_e32 v1, vcc, v5, v1, vcc
	v_mov_b32_e32 v9, s0
	global_store_dwordx2 v[0:1], v[11:12], off
	v_mov_b32_e32 v10, s1
	s_waitcnt vmcnt(0)
	global_atomic_cmpswap_x2 v[6:7], v8, v[9:12], s[2:3] offset:24 glc
	s_mov_b64 s[4:5], 0
	s_waitcnt vmcnt(0)
	v_cmp_ne_u64_e32 vcc, v[6:7], v[11:12]
	s_and_b64 exec, exec, vcc
	s_cbranch_execz .LBB15_414
.LBB15_413:                             ; =>This Inner Loop Header: Depth=1
	s_sleep 1
	global_store_dwordx2 v[0:1], v[6:7], off
	v_mov_b32_e32 v4, s0
	v_mov_b32_e32 v5, s1
	s_waitcnt vmcnt(0)
	global_atomic_cmpswap_x2 v[4:5], v8, v[4:7], s[2:3] offset:24 glc
	s_waitcnt vmcnt(0)
	v_cmp_eq_u64_e32 vcc, v[4:5], v[6:7]
	v_mov_b32_e32 v7, v5
	s_or_b64 s[4:5], vcc, s[4:5]
	v_mov_b32_e32 v6, v4
	s_andn2_b64 exec, exec, s[4:5]
	s_cbranch_execnz .LBB15_413
.LBB15_414:
	s_or_b64 exec, exec, s[6:7]
.LBB15_415:
	v_readfirstlane_b32 s0, v32
	s_waitcnt vmcnt(0)
	v_mov_b32_e32 v0, 0
	v_mov_b32_e32 v1, 0
	v_cmp_eq_u32_e64 s[0:1], s0, v32
	s_and_saveexec_b64 s[4:5], s[0:1]
	s_cbranch_execz .LBB15_421
; %bb.416:
	v_mov_b32_e32 v4, 0
	global_load_dwordx2 v[7:8], v4, s[2:3] offset:24 glc
	s_waitcnt vmcnt(0)
	buffer_wbinvl1_vol
	global_load_dwordx2 v[0:1], v4, s[2:3] offset:40
	global_load_dwordx2 v[5:6], v4, s[2:3]
	s_waitcnt vmcnt(1)
	v_and_b32_e32 v0, v0, v7
	v_and_b32_e32 v1, v1, v8
	v_mul_lo_u32 v1, v1, 24
	v_mul_hi_u32 v9, v0, 24
	v_mul_lo_u32 v0, v0, 24
	v_add_u32_e32 v1, v9, v1
	s_waitcnt vmcnt(0)
	v_add_co_u32_e32 v0, vcc, v5, v0
	v_addc_co_u32_e32 v1, vcc, v6, v1, vcc
	global_load_dwordx2 v[5:6], v[0:1], off glc
	s_waitcnt vmcnt(0)
	global_atomic_cmpswap_x2 v[0:1], v4, v[5:8], s[2:3] offset:24 glc
	s_waitcnt vmcnt(0)
	buffer_wbinvl1_vol
	v_cmp_ne_u64_e32 vcc, v[0:1], v[7:8]
	s_and_saveexec_b64 s[6:7], vcc
	s_cbranch_execz .LBB15_420
; %bb.417:
	s_mov_b64 s[8:9], 0
.LBB15_418:                             ; =>This Inner Loop Header: Depth=1
	s_sleep 1
	global_load_dwordx2 v[5:6], v4, s[2:3] offset:40
	global_load_dwordx2 v[9:10], v4, s[2:3]
	v_mov_b32_e32 v8, v1
	v_mov_b32_e32 v7, v0
	s_waitcnt vmcnt(1)
	v_and_b32_e32 v0, v5, v7
	s_waitcnt vmcnt(0)
	v_mad_u64_u32 v[0:1], s[10:11], v0, 24, v[9:10]
	v_and_b32_e32 v5, v6, v8
	v_mad_u64_u32 v[5:6], s[10:11], v5, 24, v[1:2]
	v_mov_b32_e32 v1, v5
	global_load_dwordx2 v[5:6], v[0:1], off glc
	s_waitcnt vmcnt(0)
	global_atomic_cmpswap_x2 v[0:1], v4, v[5:8], s[2:3] offset:24 glc
	s_waitcnt vmcnt(0)
	buffer_wbinvl1_vol
	v_cmp_eq_u64_e32 vcc, v[0:1], v[7:8]
	s_or_b64 s[8:9], vcc, s[8:9]
	s_andn2_b64 exec, exec, s[8:9]
	s_cbranch_execnz .LBB15_418
; %bb.419:
	s_or_b64 exec, exec, s[8:9]
.LBB15_420:
	s_or_b64 exec, exec, s[6:7]
.LBB15_421:
	s_or_b64 exec, exec, s[4:5]
	v_mov_b32_e32 v5, 0
	global_load_dwordx2 v[10:11], v5, s[2:3] offset:40
	global_load_dwordx4 v[6:9], v5, s[2:3]
	v_readfirstlane_b32 s5, v1
	v_readfirstlane_b32 s4, v0
	s_mov_b64 s[6:7], exec
	s_waitcnt vmcnt(1)
	v_readfirstlane_b32 s8, v10
	v_readfirstlane_b32 s9, v11
	s_and_b64 s[8:9], s[8:9], s[4:5]
	s_mul_i32 s10, s9, 24
	s_mul_hi_u32 s11, s8, 24
	s_mul_i32 s12, s8, 24
	s_add_i32 s10, s11, s10
	v_mov_b32_e32 v0, s10
	s_waitcnt vmcnt(0)
	v_add_co_u32_e32 v10, vcc, s12, v6
	v_addc_co_u32_e32 v11, vcc, v7, v0, vcc
	s_and_saveexec_b64 s[10:11], s[0:1]
	s_cbranch_execz .LBB15_423
; %bb.422:
	v_mov_b32_e32 v13, s7
	v_mov_b32_e32 v12, s6
	;; [unrolled: 1-line block ×4, first 2 shown]
	global_store_dwordx4 v[10:11], v[12:15], off offset:8
.LBB15_423:
	s_or_b64 exec, exec, s[10:11]
	s_lshl_b64 s[6:7], s[8:9], 12
	v_mov_b32_e32 v0, s7
	v_add_co_u32_e32 v1, vcc, s6, v8
	v_addc_co_u32_e32 v0, vcc, v9, v0, vcc
	s_movk_i32 s6, 0xff1d
	v_and_or_b32 v2, v2, s6, 34
	s_mov_b32 s8, 0
	v_mov_b32_e32 v4, 0x7c
	v_readfirstlane_b32 s6, v1
	v_readfirstlane_b32 s7, v0
	s_mov_b32 s9, s8
	s_mov_b32 s10, s8
	s_mov_b32 s11, s8
	s_nop 1
	global_store_dwordx4 v31, v[2:5], s[6:7]
	v_mov_b32_e32 v0, s8
	v_mov_b32_e32 v1, s9
	;; [unrolled: 1-line block ×4, first 2 shown]
	global_store_dwordx4 v31, v[0:3], s[6:7] offset:16
	global_store_dwordx4 v31, v[0:3], s[6:7] offset:32
	;; [unrolled: 1-line block ×3, first 2 shown]
	s_and_saveexec_b64 s[6:7], s[0:1]
	s_cbranch_execz .LBB15_431
; %bb.424:
	v_mov_b32_e32 v8, 0
	global_load_dwordx2 v[14:15], v8, s[2:3] offset:32 glc
	global_load_dwordx2 v[0:1], v8, s[2:3] offset:40
	v_mov_b32_e32 v12, s4
	v_mov_b32_e32 v13, s5
	s_waitcnt vmcnt(0)
	v_readfirstlane_b32 s8, v0
	v_readfirstlane_b32 s9, v1
	s_and_b64 s[8:9], s[8:9], s[4:5]
	s_mul_i32 s9, s9, 24
	s_mul_hi_u32 s10, s8, 24
	s_mul_i32 s8, s8, 24
	s_add_i32 s9, s10, s9
	v_mov_b32_e32 v0, s9
	v_add_co_u32_e32 v4, vcc, s8, v6
	v_addc_co_u32_e32 v5, vcc, v7, v0, vcc
	global_store_dwordx2 v[4:5], v[14:15], off
	s_waitcnt vmcnt(0)
	global_atomic_cmpswap_x2 v[2:3], v8, v[12:15], s[2:3] offset:32 glc
	s_waitcnt vmcnt(0)
	v_cmp_ne_u64_e32 vcc, v[2:3], v[14:15]
	s_and_saveexec_b64 s[8:9], vcc
	s_cbranch_execz .LBB15_427
; %bb.425:
	s_mov_b64 s[10:11], 0
.LBB15_426:                             ; =>This Inner Loop Header: Depth=1
	s_sleep 1
	global_store_dwordx2 v[4:5], v[2:3], off
	v_mov_b32_e32 v0, s4
	v_mov_b32_e32 v1, s5
	s_waitcnt vmcnt(0)
	global_atomic_cmpswap_x2 v[0:1], v8, v[0:3], s[2:3] offset:32 glc
	s_waitcnt vmcnt(0)
	v_cmp_eq_u64_e32 vcc, v[0:1], v[2:3]
	v_mov_b32_e32 v3, v1
	s_or_b64 s[10:11], vcc, s[10:11]
	v_mov_b32_e32 v2, v0
	s_andn2_b64 exec, exec, s[10:11]
	s_cbranch_execnz .LBB15_426
.LBB15_427:
	s_or_b64 exec, exec, s[8:9]
	v_mov_b32_e32 v3, 0
	global_load_dwordx2 v[0:1], v3, s[2:3] offset:16
	s_mov_b64 s[8:9], exec
	v_mbcnt_lo_u32_b32 v2, s8, 0
	v_mbcnt_hi_u32_b32 v2, s9, v2
	v_cmp_eq_u32_e32 vcc, 0, v2
	s_and_saveexec_b64 s[10:11], vcc
	s_cbranch_execz .LBB15_429
; %bb.428:
	s_bcnt1_i32_b64 s8, s[8:9]
	v_mov_b32_e32 v2, s8
	s_waitcnt vmcnt(0)
	global_atomic_add_x2 v[0:1], v[2:3], off offset:8
.LBB15_429:
	s_or_b64 exec, exec, s[10:11]
	s_waitcnt vmcnt(0)
	global_load_dwordx2 v[2:3], v[0:1], off offset:16
	s_waitcnt vmcnt(0)
	v_cmp_eq_u64_e32 vcc, 0, v[2:3]
	s_cbranch_vccnz .LBB15_431
; %bb.430:
	global_load_dword v0, v[0:1], off offset:24
	v_mov_b32_e32 v1, 0
	s_waitcnt vmcnt(0)
	v_readfirstlane_b32 s8, v0
	s_and_b32 m0, s8, 0xffffff
	global_store_dwordx2 v[2:3], v[0:1], off
	s_sendmsg sendmsg(MSG_INTERRUPT)
.LBB15_431:
	s_or_b64 exec, exec, s[6:7]
	s_branch .LBB15_435
.LBB15_432:                             ;   in Loop: Header=BB15_435 Depth=1
	s_or_b64 exec, exec, s[6:7]
	v_readfirstlane_b32 s6, v0
	s_cmp_eq_u32 s6, 0
	s_cbranch_scc1 .LBB15_434
; %bb.433:                              ;   in Loop: Header=BB15_435 Depth=1
	s_sleep 1
	s_cbranch_execnz .LBB15_435
	s_branch .LBB15_437
.LBB15_434:
	s_branch .LBB15_437
.LBB15_435:                             ; =>This Inner Loop Header: Depth=1
	v_mov_b32_e32 v0, 1
	s_and_saveexec_b64 s[6:7], s[0:1]
	s_cbranch_execz .LBB15_432
; %bb.436:                              ;   in Loop: Header=BB15_435 Depth=1
	global_load_dword v0, v[10:11], off offset:20 glc
	s_waitcnt vmcnt(0)
	buffer_wbinvl1_vol
	v_and_b32_e32 v0, 1, v0
	s_branch .LBB15_432
.LBB15_437:
	s_and_saveexec_b64 s[6:7], s[0:1]
	s_cbranch_execz .LBB15_440
; %bb.438:
	v_mov_b32_e32 v6, 0
	global_load_dwordx2 v[0:1], v6, s[2:3] offset:40
	global_load_dwordx2 v[9:10], v6, s[2:3] offset:24 glc
	global_load_dwordx2 v[2:3], v6, s[2:3]
	s_waitcnt vmcnt(2)
	v_readfirstlane_b32 s8, v0
	v_readfirstlane_b32 s9, v1
	s_add_u32 s10, s8, 1
	s_addc_u32 s11, s9, 0
	s_add_u32 s0, s10, s4
	s_addc_u32 s1, s11, s5
	s_cmp_eq_u64 s[0:1], 0
	s_cselect_b32 s1, s11, s1
	s_cselect_b32 s0, s10, s0
	s_and_b64 s[4:5], s[0:1], s[8:9]
	s_mul_i32 s5, s5, 24
	s_mul_hi_u32 s8, s4, 24
	s_mul_i32 s4, s4, 24
	s_add_i32 s5, s8, s5
	v_mov_b32_e32 v0, s5
	s_waitcnt vmcnt(0)
	v_add_co_u32_e32 v4, vcc, s4, v2
	v_addc_co_u32_e32 v5, vcc, v3, v0, vcc
	v_mov_b32_e32 v7, s0
	global_store_dwordx2 v[4:5], v[9:10], off
	v_mov_b32_e32 v8, s1
	s_waitcnt vmcnt(0)
	global_atomic_cmpswap_x2 v[2:3], v6, v[7:10], s[2:3] offset:24 glc
	s_mov_b64 s[4:5], 0
	s_waitcnt vmcnt(0)
	v_cmp_ne_u64_e32 vcc, v[2:3], v[9:10]
	s_and_b64 exec, exec, vcc
	s_cbranch_execz .LBB15_440
.LBB15_439:                             ; =>This Inner Loop Header: Depth=1
	s_sleep 1
	global_store_dwordx2 v[4:5], v[2:3], off
	v_mov_b32_e32 v0, s0
	v_mov_b32_e32 v1, s1
	s_waitcnt vmcnt(0)
	global_atomic_cmpswap_x2 v[0:1], v6, v[0:3], s[2:3] offset:24 glc
	s_waitcnt vmcnt(0)
	v_cmp_eq_u64_e32 vcc, v[0:1], v[2:3]
	v_mov_b32_e32 v3, v1
	s_or_b64 s[4:5], vcc, s[4:5]
	v_mov_b32_e32 v2, v0
	s_andn2_b64 exec, exec, s[4:5]
	s_cbranch_execnz .LBB15_439
.LBB15_440:
	s_or_b64 exec, exec, s[6:7]
	s_trap 2
	; divergent unreachable
	s_endpgm
	.section	.rodata,"a",@progbits
	.p2align	6, 0x0
	.amdhsa_kernel _ZN9rocsparseL38csr2csr_compress_use_warp_start_deviceILj256ELj32ELj2E21rocsparse_complex_numIdEEEvi21rocsparse_index_base_PKT2_PKiS3_PS4_PiPKjS4_
		.amdhsa_group_segment_fixed_size 0
		.amdhsa_private_segment_fixed_size 0
		.amdhsa_kernarg_size 328
		.amdhsa_user_sgpr_count 6
		.amdhsa_user_sgpr_private_segment_buffer 1
		.amdhsa_user_sgpr_dispatch_ptr 0
		.amdhsa_user_sgpr_queue_ptr 0
		.amdhsa_user_sgpr_kernarg_segment_ptr 1
		.amdhsa_user_sgpr_dispatch_id 0
		.amdhsa_user_sgpr_flat_scratch_init 0
		.amdhsa_user_sgpr_private_segment_size 0
		.amdhsa_uses_dynamic_stack 0
		.amdhsa_system_sgpr_private_segment_wavefront_offset 0
		.amdhsa_system_sgpr_workgroup_id_x 1
		.amdhsa_system_sgpr_workgroup_id_y 0
		.amdhsa_system_sgpr_workgroup_id_z 0
		.amdhsa_system_sgpr_workgroup_info 0
		.amdhsa_system_vgpr_workitem_id 0
		.amdhsa_next_free_vgpr 34
		.amdhsa_next_free_sgpr 29
		.amdhsa_reserve_vcc 1
		.amdhsa_reserve_flat_scratch 0
		.amdhsa_float_round_mode_32 0
		.amdhsa_float_round_mode_16_64 0
		.amdhsa_float_denorm_mode_32 3
		.amdhsa_float_denorm_mode_16_64 3
		.amdhsa_dx10_clamp 1
		.amdhsa_ieee_mode 1
		.amdhsa_fp16_overflow 0
		.amdhsa_exception_fp_ieee_invalid_op 0
		.amdhsa_exception_fp_denorm_src 0
		.amdhsa_exception_fp_ieee_div_zero 0
		.amdhsa_exception_fp_ieee_overflow 0
		.amdhsa_exception_fp_ieee_underflow 0
		.amdhsa_exception_fp_ieee_inexact 0
		.amdhsa_exception_int_div_zero 0
	.end_amdhsa_kernel
	.section	.text._ZN9rocsparseL38csr2csr_compress_use_warp_start_deviceILj256ELj32ELj2E21rocsparse_complex_numIdEEEvi21rocsparse_index_base_PKT2_PKiS3_PS4_PiPKjS4_,"axG",@progbits,_ZN9rocsparseL38csr2csr_compress_use_warp_start_deviceILj256ELj32ELj2E21rocsparse_complex_numIdEEEvi21rocsparse_index_base_PKT2_PKiS3_PS4_PiPKjS4_,comdat
.Lfunc_end15:
	.size	_ZN9rocsparseL38csr2csr_compress_use_warp_start_deviceILj256ELj32ELj2E21rocsparse_complex_numIdEEEvi21rocsparse_index_base_PKT2_PKiS3_PS4_PiPKjS4_, .Lfunc_end15-_ZN9rocsparseL38csr2csr_compress_use_warp_start_deviceILj256ELj32ELj2E21rocsparse_complex_numIdEEEvi21rocsparse_index_base_PKT2_PKiS3_PS4_PiPKjS4_
                                        ; -- End function
	.set _ZN9rocsparseL38csr2csr_compress_use_warp_start_deviceILj256ELj32ELj2E21rocsparse_complex_numIdEEEvi21rocsparse_index_base_PKT2_PKiS3_PS4_PiPKjS4_.num_vgpr, 34
	.set _ZN9rocsparseL38csr2csr_compress_use_warp_start_deviceILj256ELj32ELj2E21rocsparse_complex_numIdEEEvi21rocsparse_index_base_PKT2_PKiS3_PS4_PiPKjS4_.num_agpr, 0
	.set _ZN9rocsparseL38csr2csr_compress_use_warp_start_deviceILj256ELj32ELj2E21rocsparse_complex_numIdEEEvi21rocsparse_index_base_PKT2_PKiS3_PS4_PiPKjS4_.numbered_sgpr, 29
	.set _ZN9rocsparseL38csr2csr_compress_use_warp_start_deviceILj256ELj32ELj2E21rocsparse_complex_numIdEEEvi21rocsparse_index_base_PKT2_PKiS3_PS4_PiPKjS4_.num_named_barrier, 0
	.set _ZN9rocsparseL38csr2csr_compress_use_warp_start_deviceILj256ELj32ELj2E21rocsparse_complex_numIdEEEvi21rocsparse_index_base_PKT2_PKiS3_PS4_PiPKjS4_.private_seg_size, 0
	.set _ZN9rocsparseL38csr2csr_compress_use_warp_start_deviceILj256ELj32ELj2E21rocsparse_complex_numIdEEEvi21rocsparse_index_base_PKT2_PKiS3_PS4_PiPKjS4_.uses_vcc, 1
	.set _ZN9rocsparseL38csr2csr_compress_use_warp_start_deviceILj256ELj32ELj2E21rocsparse_complex_numIdEEEvi21rocsparse_index_base_PKT2_PKiS3_PS4_PiPKjS4_.uses_flat_scratch, 0
	.set _ZN9rocsparseL38csr2csr_compress_use_warp_start_deviceILj256ELj32ELj2E21rocsparse_complex_numIdEEEvi21rocsparse_index_base_PKT2_PKiS3_PS4_PiPKjS4_.has_dyn_sized_stack, 0
	.set _ZN9rocsparseL38csr2csr_compress_use_warp_start_deviceILj256ELj32ELj2E21rocsparse_complex_numIdEEEvi21rocsparse_index_base_PKT2_PKiS3_PS4_PiPKjS4_.has_recursion, 0
	.set _ZN9rocsparseL38csr2csr_compress_use_warp_start_deviceILj256ELj32ELj2E21rocsparse_complex_numIdEEEvi21rocsparse_index_base_PKT2_PKiS3_PS4_PiPKjS4_.has_indirect_call, 0
	.section	.AMDGPU.csdata,"",@progbits
; Kernel info:
; codeLenInByte = 15900
; TotalNumSgprs: 33
; NumVgprs: 34
; ScratchSize: 0
; MemoryBound: 0
; FloatMode: 240
; IeeeMode: 1
; LDSByteSize: 0 bytes/workgroup (compile time only)
; SGPRBlocks: 4
; VGPRBlocks: 8
; NumSGPRsForWavesPerEU: 33
; NumVGPRsForWavesPerEU: 34
; Occupancy: 7
; WaveLimiterHint : 1
; COMPUTE_PGM_RSRC2:SCRATCH_EN: 0
; COMPUTE_PGM_RSRC2:USER_SGPR: 6
; COMPUTE_PGM_RSRC2:TRAP_HANDLER: 0
; COMPUTE_PGM_RSRC2:TGID_X_EN: 1
; COMPUTE_PGM_RSRC2:TGID_Y_EN: 0
; COMPUTE_PGM_RSRC2:TGID_Z_EN: 0
; COMPUTE_PGM_RSRC2:TIDIG_COMP_CNT: 0
	.section	.text._ZN9rocsparseL38csr2csr_compress_use_warp_start_deviceILj256ELj64ELj2E21rocsparse_complex_numIdEEEvi21rocsparse_index_base_PKT2_PKiS3_PS4_PiPKjS4_,"axG",@progbits,_ZN9rocsparseL38csr2csr_compress_use_warp_start_deviceILj256ELj64ELj2E21rocsparse_complex_numIdEEEvi21rocsparse_index_base_PKT2_PKiS3_PS4_PiPKjS4_,comdat
	.globl	_ZN9rocsparseL38csr2csr_compress_use_warp_start_deviceILj256ELj64ELj2E21rocsparse_complex_numIdEEEvi21rocsparse_index_base_PKT2_PKiS3_PS4_PiPKjS4_ ; -- Begin function _ZN9rocsparseL38csr2csr_compress_use_warp_start_deviceILj256ELj64ELj2E21rocsparse_complex_numIdEEEvi21rocsparse_index_base_PKT2_PKiS3_PS4_PiPKjS4_
	.p2align	8
	.type	_ZN9rocsparseL38csr2csr_compress_use_warp_start_deviceILj256ELj64ELj2E21rocsparse_complex_numIdEEEvi21rocsparse_index_base_PKT2_PKiS3_PS4_PiPKjS4_,@function
_ZN9rocsparseL38csr2csr_compress_use_warp_start_deviceILj256ELj64ELj2E21rocsparse_complex_numIdEEEvi21rocsparse_index_base_PKT2_PKiS3_PS4_PiPKjS4_: ; @_ZN9rocsparseL38csr2csr_compress_use_warp_start_deviceILj256ELj64ELj2E21rocsparse_complex_numIdEEEvi21rocsparse_index_base_PKT2_PKiS3_PS4_PiPKjS4_
; %bb.0:
	s_load_dwordx4 s[16:19], s[4:5], 0x0
	s_load_dwordx2 s[2:3], s[4:5], 0x10
	s_load_dword s7, s[4:5], 0x18
	s_load_dwordx8 s[8:15], s[4:5], 0x20
	v_not_b32_e32 v1, v0
	v_lshl_or_b32 v4, s6, 9, v0
	v_lshrrev_b32_e32 v0, 6, v0
	v_lshrrev_b64 v[8:9], v1, -1
	s_mov_b64 s[0:1], -1
	v_lshl_or_b32 v6, s6, 3, v0
	s_waitcnt lgkmcnt(0)
	s_sub_i32 s28, s7, s17
	v_cmp_gt_i32_e32 vcc, s16, v4
	s_mov_b64 s[6:7], 0
	s_and_saveexec_b64 s[20:21], vcc
	s_cbranch_execnz .LBB16_4
; %bb.1:
	s_or_b64 exec, exec, s[20:21]
	s_and_saveexec_b64 s[20:21], s[0:1]
	s_cbranch_execnz .LBB16_23
.LBB16_2:
	s_or_b64 exec, exec, s[20:21]
	s_and_saveexec_b64 s[0:1], s[6:7]
	s_xor_b64 s[0:1], exec, s[0:1]
	s_cbranch_execnz .LBB16_44
.LBB16_3:
	s_endpgm
.LBB16_4:
	v_ashrrev_i32_e32 v5, 31, v4
	v_lshlrev_b64 v[0:1], 4, v[4:5]
	v_mov_b32_e32 v2, s19
	v_add_co_u32_e32 v0, vcc, s18, v0
	v_addc_co_u32_e32 v1, vcc, v2, v1, vcc
	global_load_dwordx4 v[0:3], v[0:1], off glc slc
                                        ; implicit-def: $vgpr14_vgpr15
	s_waitcnt vmcnt(0)
	v_cmp_gt_f64_e32 vcc, 0, v[0:1]
	v_xor_b32_e32 v7, 0x80000000, v1
	v_xor_b32_e32 v12, 0x80000000, v3
	v_mov_b32_e32 v10, v0
	v_cndmask_b32_e32 v11, v1, v7, vcc
	v_cmp_gt_f64_e32 vcc, 0, v[2:3]
	v_cndmask_b32_e32 v13, v3, v12, vcc
	v_mov_b32_e32 v12, v2
	v_cmp_ngt_f64_e64 s[0:1], v[10:11], v[12:13]
	s_and_saveexec_b64 s[6:7], s[0:1]
	s_xor_b64 s[6:7], exec, s[6:7]
	s_cbranch_execz .LBB16_8
; %bb.5:
	v_cmp_neq_f64_e32 vcc, 0, v[2:3]
	v_mov_b32_e32 v14, 0
	v_mov_b32_e32 v15, 0
	s_and_saveexec_b64 s[22:23], vcc
	s_cbranch_execz .LBB16_7
; %bb.6:
	v_div_scale_f64 v[14:15], s[24:25], v[12:13], v[12:13], v[10:11]
	s_mov_b32 s24, 0
	s_brev_b32 s25, 8
	v_mov_b32_e32 v7, 0x100
	v_rcp_f64_e32 v[16:17], v[14:15]
	v_fma_f64 v[18:19], -v[14:15], v[16:17], 1.0
	v_fma_f64 v[16:17], v[16:17], v[18:19], v[16:17]
	v_div_scale_f64 v[18:19], vcc, v[10:11], v[12:13], v[10:11]
	v_fma_f64 v[20:21], -v[14:15], v[16:17], 1.0
	v_fma_f64 v[16:17], v[16:17], v[20:21], v[16:17]
	v_mul_f64 v[20:21], v[18:19], v[16:17]
	v_fma_f64 v[14:15], -v[14:15], v[20:21], v[18:19]
	v_div_fmas_f64 v[14:15], v[14:15], v[16:17], v[20:21]
	v_div_fixup_f64 v[14:15], v[14:15], v[12:13], v[10:11]
	v_fma_f64 v[14:15], v[14:15], v[14:15], 1.0
	v_cmp_gt_f64_e32 vcc, s[24:25], v[14:15]
	v_cndmask_b32_e32 v7, 0, v7, vcc
	v_ldexp_f64 v[14:15], v[14:15], v7
	v_mov_b32_e32 v7, 0xffffff80
	v_cndmask_b32_e32 v7, 0, v7, vcc
	v_rsq_f64_e32 v[16:17], v[14:15]
	v_mul_f64 v[18:19], v[14:15], v[16:17]
	v_mul_f64 v[16:17], v[16:17], 0.5
	v_fma_f64 v[20:21], -v[16:17], v[18:19], 0.5
	v_fma_f64 v[18:19], v[18:19], v[20:21], v[18:19]
	v_fma_f64 v[16:17], v[16:17], v[20:21], v[16:17]
	v_fma_f64 v[20:21], -v[18:19], v[18:19], v[14:15]
	v_fma_f64 v[18:19], v[20:21], v[16:17], v[18:19]
	v_fma_f64 v[20:21], -v[18:19], v[18:19], v[14:15]
	v_fma_f64 v[16:17], v[20:21], v[16:17], v[18:19]
	v_mov_b32_e32 v18, 0x260
	v_cmp_class_f64_e32 vcc, v[14:15], v18
	v_ldexp_f64 v[16:17], v[16:17], v7
	v_cndmask_b32_e32 v15, v17, v15, vcc
	v_cndmask_b32_e32 v14, v16, v14, vcc
	v_mul_f64 v[14:15], v[12:13], v[14:15]
.LBB16_7:
	s_or_b64 exec, exec, s[22:23]
.LBB16_8:
	s_andn2_saveexec_b64 s[6:7], s[6:7]
	s_cbranch_execz .LBB16_10
; %bb.9:
	v_div_scale_f64 v[14:15], s[22:23], v[10:11], v[10:11], v[12:13]
	s_mov_b32 s22, 0
	s_brev_b32 s23, 8
	v_mov_b32_e32 v7, 0x100
	v_rcp_f64_e32 v[16:17], v[14:15]
	v_fma_f64 v[18:19], -v[14:15], v[16:17], 1.0
	v_fma_f64 v[16:17], v[16:17], v[18:19], v[16:17]
	v_div_scale_f64 v[18:19], vcc, v[12:13], v[10:11], v[12:13]
	v_fma_f64 v[20:21], -v[14:15], v[16:17], 1.0
	v_fma_f64 v[16:17], v[16:17], v[20:21], v[16:17]
	v_mul_f64 v[20:21], v[18:19], v[16:17]
	v_fma_f64 v[14:15], -v[14:15], v[20:21], v[18:19]
	v_div_fmas_f64 v[14:15], v[14:15], v[16:17], v[20:21]
	v_div_fixup_f64 v[14:15], v[14:15], v[10:11], v[12:13]
	v_fma_f64 v[14:15], v[14:15], v[14:15], 1.0
	v_cmp_gt_f64_e32 vcc, s[22:23], v[14:15]
	v_cndmask_b32_e32 v7, 0, v7, vcc
	v_ldexp_f64 v[14:15], v[14:15], v7
	v_mov_b32_e32 v7, 0xffffff80
	v_cndmask_b32_e32 v7, 0, v7, vcc
	v_rsq_f64_e32 v[16:17], v[14:15]
	v_mul_f64 v[18:19], v[14:15], v[16:17]
	v_mul_f64 v[16:17], v[16:17], 0.5
	v_fma_f64 v[20:21], -v[16:17], v[18:19], 0.5
	v_fma_f64 v[18:19], v[18:19], v[20:21], v[18:19]
	v_fma_f64 v[16:17], v[16:17], v[20:21], v[16:17]
	v_fma_f64 v[20:21], -v[18:19], v[18:19], v[14:15]
	v_fma_f64 v[18:19], v[20:21], v[16:17], v[18:19]
	v_fma_f64 v[20:21], -v[18:19], v[18:19], v[14:15]
	v_fma_f64 v[16:17], v[20:21], v[16:17], v[18:19]
	v_mov_b32_e32 v18, 0x260
	v_cmp_class_f64_e32 vcc, v[14:15], v18
	v_ldexp_f64 v[16:17], v[16:17], v7
	v_cndmask_b32_e32 v15, v17, v15, vcc
	v_cndmask_b32_e32 v14, v16, v14, vcc
	v_mul_f64 v[14:15], v[10:11], v[14:15]
.LBB16_10:
	s_or_b64 exec, exec, s[6:7]
	v_cmp_lt_f64_e32 vcc, s[14:15], v[14:15]
	s_mov_b64 s[22:23], 0
	s_and_saveexec_b64 s[6:7], vcc
	s_cbranch_execz .LBB16_18
; %bb.11:
                                        ; implicit-def: $vgpr14_vgpr15
	s_and_saveexec_b64 s[22:23], s[0:1]
	s_xor_b64 s[0:1], exec, s[22:23]
	s_cbranch_execz .LBB16_15
; %bb.12:
	v_cmp_neq_f64_e32 vcc, 0, v[2:3]
	v_mov_b32_e32 v14, 0
	v_mov_b32_e32 v15, 0
	s_and_saveexec_b64 s[22:23], vcc
	s_cbranch_execz .LBB16_14
; %bb.13:
	v_div_scale_f64 v[14:15], s[24:25], v[12:13], v[12:13], v[10:11]
	s_mov_b32 s24, 0
	s_brev_b32 s25, 8
	v_mov_b32_e32 v7, 0x100
	v_rcp_f64_e32 v[16:17], v[14:15]
	v_fma_f64 v[18:19], -v[14:15], v[16:17], 1.0
	v_fma_f64 v[16:17], v[16:17], v[18:19], v[16:17]
	v_div_scale_f64 v[18:19], vcc, v[10:11], v[12:13], v[10:11]
	v_fma_f64 v[20:21], -v[14:15], v[16:17], 1.0
	v_fma_f64 v[16:17], v[16:17], v[20:21], v[16:17]
	v_mul_f64 v[20:21], v[18:19], v[16:17]
	v_fma_f64 v[14:15], -v[14:15], v[20:21], v[18:19]
	v_div_fmas_f64 v[14:15], v[14:15], v[16:17], v[20:21]
	v_div_fixup_f64 v[10:11], v[14:15], v[12:13], v[10:11]
	v_fma_f64 v[10:11], v[10:11], v[10:11], 1.0
	v_cmp_gt_f64_e32 vcc, s[24:25], v[10:11]
	v_cndmask_b32_e32 v7, 0, v7, vcc
	v_ldexp_f64 v[10:11], v[10:11], v7
	v_mov_b32_e32 v7, 0xffffff80
	v_cndmask_b32_e32 v7, 0, v7, vcc
	v_rsq_f64_e32 v[14:15], v[10:11]
	v_mul_f64 v[16:17], v[10:11], v[14:15]
	v_mul_f64 v[14:15], v[14:15], 0.5
	v_fma_f64 v[18:19], -v[14:15], v[16:17], 0.5
	v_fma_f64 v[16:17], v[16:17], v[18:19], v[16:17]
	v_fma_f64 v[14:15], v[14:15], v[18:19], v[14:15]
	v_fma_f64 v[18:19], -v[16:17], v[16:17], v[10:11]
	v_fma_f64 v[16:17], v[18:19], v[14:15], v[16:17]
	v_fma_f64 v[18:19], -v[16:17], v[16:17], v[10:11]
	v_fma_f64 v[14:15], v[18:19], v[14:15], v[16:17]
	v_mov_b32_e32 v16, 0x260
	v_cmp_class_f64_e32 vcc, v[10:11], v16
	v_ldexp_f64 v[14:15], v[14:15], v7
	v_cndmask_b32_e32 v11, v15, v11, vcc
	v_cndmask_b32_e32 v10, v14, v10, vcc
	v_mul_f64 v[14:15], v[12:13], v[10:11]
.LBB16_14:
	s_or_b64 exec, exec, s[22:23]
                                        ; implicit-def: $vgpr10_vgpr11
                                        ; implicit-def: $vgpr12_vgpr13
.LBB16_15:
	s_andn2_saveexec_b64 s[0:1], s[0:1]
	s_cbranch_execz .LBB16_17
; %bb.16:
	v_div_scale_f64 v[14:15], s[22:23], v[10:11], v[10:11], v[12:13]
	s_mov_b32 s22, 0
	s_brev_b32 s23, 8
	v_mov_b32_e32 v7, 0x100
	v_rcp_f64_e32 v[16:17], v[14:15]
	v_fma_f64 v[18:19], -v[14:15], v[16:17], 1.0
	v_fma_f64 v[16:17], v[16:17], v[18:19], v[16:17]
	v_div_scale_f64 v[18:19], vcc, v[12:13], v[10:11], v[12:13]
	v_fma_f64 v[20:21], -v[14:15], v[16:17], 1.0
	v_fma_f64 v[16:17], v[16:17], v[20:21], v[16:17]
	v_mul_f64 v[20:21], v[18:19], v[16:17]
	v_fma_f64 v[14:15], -v[14:15], v[20:21], v[18:19]
	v_div_fmas_f64 v[14:15], v[14:15], v[16:17], v[20:21]
	v_div_fixup_f64 v[12:13], v[14:15], v[10:11], v[12:13]
	v_fma_f64 v[12:13], v[12:13], v[12:13], 1.0
	v_cmp_gt_f64_e32 vcc, s[22:23], v[12:13]
	v_cndmask_b32_e32 v7, 0, v7, vcc
	v_ldexp_f64 v[12:13], v[12:13], v7
	v_mov_b32_e32 v7, 0xffffff80
	v_cndmask_b32_e32 v7, 0, v7, vcc
	v_rsq_f64_e32 v[14:15], v[12:13]
	v_mul_f64 v[16:17], v[12:13], v[14:15]
	v_mul_f64 v[14:15], v[14:15], 0.5
	v_fma_f64 v[18:19], -v[14:15], v[16:17], 0.5
	v_fma_f64 v[16:17], v[16:17], v[18:19], v[16:17]
	v_fma_f64 v[14:15], v[14:15], v[18:19], v[14:15]
	v_fma_f64 v[18:19], -v[16:17], v[16:17], v[12:13]
	v_fma_f64 v[16:17], v[18:19], v[14:15], v[16:17]
	v_fma_f64 v[18:19], -v[16:17], v[16:17], v[12:13]
	v_fma_f64 v[14:15], v[18:19], v[14:15], v[16:17]
	v_mov_b32_e32 v16, 0x260
	v_cmp_class_f64_e32 vcc, v[12:13], v16
	v_ldexp_f64 v[14:15], v[14:15], v7
	v_cndmask_b32_e32 v13, v15, v13, vcc
	v_cndmask_b32_e32 v12, v14, v12, vcc
	v_mul_f64 v[14:15], v[10:11], v[12:13]
.LBB16_17:
	s_or_b64 exec, exec, s[0:1]
	s_mov_b32 s0, 0
	s_mov_b32 s1, 0x38100000
	v_cmp_lt_f64_e32 vcc, s[0:1], v[14:15]
	s_and_b64 s[22:23], vcc, exec
.LBB16_18:
	s_or_b64 exec, exec, s[6:7]
	v_cndmask_b32_e64 v7, 0, 1, s[22:23]
	v_cmp_ne_u32_e32 vcc, 0, v7
	s_mov_b64 s[24:25], -1
	s_mov_b64 s[26:27], 0
	s_and_saveexec_b64 s[0:1], s[22:23]
	s_cbranch_execz .LBB16_22
; %bb.19:
	v_and_b32_e32 v11, vcc_hi, v9
	v_and_b32_e32 v10, vcc_lo, v8
	v_cmp_ne_u64_e32 vcc, 0, v[10:11]
	s_mov_b64 s[6:7], 0
	s_and_saveexec_b64 s[22:23], vcc
	s_cbranch_execz .LBB16_21
; %bb.20:
	v_mov_b32_e32 v7, 0
	v_lshlrev_b64 v[12:13], 2, v[6:7]
	v_mov_b32_e32 v14, s13
	v_add_co_u32_e32 v12, vcc, s12, v12
	v_addc_co_u32_e32 v13, vcc, v14, v13, vcc
	v_lshlrev_b64 v[14:15], 2, v[4:5]
	v_mov_b32_e32 v5, s3
	v_add_co_u32_e32 v14, vcc, s2, v14
	v_addc_co_u32_e32 v15, vcc, v5, v15, vcc
	global_load_dword v5, v[14:15], off
	global_load_dword v16, v[12:13], off
	v_bcnt_u32_b32 v10, v10, 0
	v_bcnt_u32_b32 v10, v11, v10
	v_mov_b32_e32 v11, v7
	v_mov_b32_e32 v14, s9
	s_mov_b64 s[6:7], exec
	v_mov_b32_e32 v15, s11
	s_xor_b64 s[24:25], exec, -1
	s_waitcnt vmcnt(1)
	v_add_u32_e32 v5, s28, v5
	s_waitcnt vmcnt(0)
	v_add3_u32 v10, v10, v16, -1
	v_lshlrev_b64 v[12:13], 4, v[10:11]
	v_lshlrev_b64 v[10:11], 2, v[10:11]
	v_add_co_u32_e32 v12, vcc, s8, v12
	v_addc_co_u32_e32 v13, vcc, v14, v13, vcc
	v_add_co_u32_e32 v10, vcc, s10, v10
	v_addc_co_u32_e32 v11, vcc, v15, v11, vcc
	global_store_dwordx4 v[12:13], v[0:3], off
	global_store_dword v[10:11], v5, off
.LBB16_21:
	s_or_b64 exec, exec, s[22:23]
	s_and_b64 s[26:27], s[24:25], exec
	s_orn2_b64 s[24:25], s[6:7], exec
.LBB16_22:
	s_or_b64 exec, exec, s[0:1]
	s_and_b64 s[6:7], s[26:27], exec
	s_orn2_b64 s[0:1], s[24:25], exec
	s_or_b64 exec, exec, s[20:21]
	s_and_saveexec_b64 s[20:21], s[0:1]
	s_cbranch_execz .LBB16_2
.LBB16_23:
	v_add_u32_e32 v0, 0x100, v4
	v_cmp_gt_i32_e32 vcc, s16, v0
	s_mov_b64 s[0:1], s[6:7]
	s_and_saveexec_b64 s[16:17], vcc
	s_cbranch_execz .LBB16_43
; %bb.24:
	v_ashrrev_i32_e32 v1, 31, v0
	v_lshlrev_b64 v[0:1], 4, v[0:1]
	v_mov_b32_e32 v2, s19
	v_add_co_u32_e32 v0, vcc, s18, v0
	v_addc_co_u32_e32 v1, vcc, v2, v1, vcc
	global_load_dwordx4 v[0:3], v[0:1], off glc slc
                                        ; implicit-def: $vgpr14_vgpr15
	s_waitcnt vmcnt(0)
	v_cmp_gt_f64_e32 vcc, 0, v[0:1]
	v_xor_b32_e32 v5, 0x80000000, v1
	v_xor_b32_e32 v7, 0x80000000, v3
	v_mov_b32_e32 v10, v0
	v_mov_b32_e32 v12, v2
	v_cndmask_b32_e32 v11, v1, v5, vcc
	v_cmp_gt_f64_e32 vcc, 0, v[2:3]
	v_cndmask_b32_e32 v13, v3, v7, vcc
	v_cmp_ngt_f64_e64 s[0:1], v[10:11], v[12:13]
	s_and_saveexec_b64 s[18:19], s[0:1]
	s_xor_b64 s[18:19], exec, s[18:19]
	s_cbranch_execz .LBB16_28
; %bb.25:
	v_cmp_neq_f64_e32 vcc, 0, v[2:3]
	v_mov_b32_e32 v14, 0
	v_mov_b32_e32 v15, 0
	s_and_saveexec_b64 s[22:23], vcc
	s_cbranch_execz .LBB16_27
; %bb.26:
	v_div_scale_f64 v[14:15], s[24:25], v[12:13], v[12:13], v[10:11]
	s_mov_b32 s24, 0
	s_brev_b32 s25, 8
	v_mov_b32_e32 v5, 0x100
	v_mov_b32_e32 v7, 0x260
	v_rcp_f64_e32 v[16:17], v[14:15]
	v_fma_f64 v[18:19], -v[14:15], v[16:17], 1.0
	v_fma_f64 v[16:17], v[16:17], v[18:19], v[16:17]
	v_div_scale_f64 v[18:19], vcc, v[10:11], v[12:13], v[10:11]
	v_fma_f64 v[20:21], -v[14:15], v[16:17], 1.0
	v_fma_f64 v[16:17], v[16:17], v[20:21], v[16:17]
	v_mul_f64 v[20:21], v[18:19], v[16:17]
	v_fma_f64 v[14:15], -v[14:15], v[20:21], v[18:19]
	v_div_fmas_f64 v[14:15], v[14:15], v[16:17], v[20:21]
	v_div_fixup_f64 v[14:15], v[14:15], v[12:13], v[10:11]
	v_fma_f64 v[14:15], v[14:15], v[14:15], 1.0
	v_cmp_gt_f64_e32 vcc, s[24:25], v[14:15]
	v_cndmask_b32_e32 v5, 0, v5, vcc
	v_ldexp_f64 v[14:15], v[14:15], v5
	v_mov_b32_e32 v5, 0xffffff80
	v_cndmask_b32_e32 v5, 0, v5, vcc
	v_rsq_f64_e32 v[16:17], v[14:15]
	v_cmp_class_f64_e32 vcc, v[14:15], v7
	v_mul_f64 v[18:19], v[14:15], v[16:17]
	v_mul_f64 v[16:17], v[16:17], 0.5
	v_fma_f64 v[20:21], -v[16:17], v[18:19], 0.5
	v_fma_f64 v[18:19], v[18:19], v[20:21], v[18:19]
	v_fma_f64 v[16:17], v[16:17], v[20:21], v[16:17]
	v_fma_f64 v[20:21], -v[18:19], v[18:19], v[14:15]
	v_fma_f64 v[18:19], v[20:21], v[16:17], v[18:19]
	v_fma_f64 v[20:21], -v[18:19], v[18:19], v[14:15]
	v_fma_f64 v[16:17], v[20:21], v[16:17], v[18:19]
	v_ldexp_f64 v[16:17], v[16:17], v5
	v_cndmask_b32_e32 v15, v17, v15, vcc
	v_cndmask_b32_e32 v14, v16, v14, vcc
	v_mul_f64 v[14:15], v[12:13], v[14:15]
.LBB16_27:
	s_or_b64 exec, exec, s[22:23]
.LBB16_28:
	s_andn2_saveexec_b64 s[18:19], s[18:19]
	s_cbranch_execz .LBB16_30
; %bb.29:
	v_div_scale_f64 v[14:15], s[22:23], v[10:11], v[10:11], v[12:13]
	s_mov_b32 s22, 0
	s_brev_b32 s23, 8
	v_mov_b32_e32 v5, 0x100
	v_mov_b32_e32 v7, 0x260
	v_rcp_f64_e32 v[16:17], v[14:15]
	v_fma_f64 v[18:19], -v[14:15], v[16:17], 1.0
	v_fma_f64 v[16:17], v[16:17], v[18:19], v[16:17]
	v_div_scale_f64 v[18:19], vcc, v[12:13], v[10:11], v[12:13]
	v_fma_f64 v[20:21], -v[14:15], v[16:17], 1.0
	v_fma_f64 v[16:17], v[16:17], v[20:21], v[16:17]
	v_mul_f64 v[20:21], v[18:19], v[16:17]
	v_fma_f64 v[14:15], -v[14:15], v[20:21], v[18:19]
	v_div_fmas_f64 v[14:15], v[14:15], v[16:17], v[20:21]
	v_div_fixup_f64 v[14:15], v[14:15], v[10:11], v[12:13]
	v_fma_f64 v[14:15], v[14:15], v[14:15], 1.0
	v_cmp_gt_f64_e32 vcc, s[22:23], v[14:15]
	v_cndmask_b32_e32 v5, 0, v5, vcc
	v_ldexp_f64 v[14:15], v[14:15], v5
	v_mov_b32_e32 v5, 0xffffff80
	v_cndmask_b32_e32 v5, 0, v5, vcc
	v_rsq_f64_e32 v[16:17], v[14:15]
	v_cmp_class_f64_e32 vcc, v[14:15], v7
	v_mul_f64 v[18:19], v[14:15], v[16:17]
	v_mul_f64 v[16:17], v[16:17], 0.5
	v_fma_f64 v[20:21], -v[16:17], v[18:19], 0.5
	v_fma_f64 v[18:19], v[18:19], v[20:21], v[18:19]
	v_fma_f64 v[16:17], v[16:17], v[20:21], v[16:17]
	v_fma_f64 v[20:21], -v[18:19], v[18:19], v[14:15]
	v_fma_f64 v[18:19], v[20:21], v[16:17], v[18:19]
	v_fma_f64 v[20:21], -v[18:19], v[18:19], v[14:15]
	v_fma_f64 v[16:17], v[20:21], v[16:17], v[18:19]
	v_ldexp_f64 v[16:17], v[16:17], v5
	v_cndmask_b32_e32 v15, v17, v15, vcc
	v_cndmask_b32_e32 v14, v16, v14, vcc
	v_mul_f64 v[14:15], v[10:11], v[14:15]
.LBB16_30:
	s_or_b64 exec, exec, s[18:19]
	v_cmp_lt_f64_e32 vcc, s[14:15], v[14:15]
	s_mov_b64 s[18:19], 0
	s_and_saveexec_b64 s[14:15], vcc
	s_cbranch_execz .LBB16_38
; %bb.31:
                                        ; implicit-def: $vgpr14_vgpr15
	s_and_saveexec_b64 s[18:19], s[0:1]
	s_xor_b64 s[0:1], exec, s[18:19]
	s_cbranch_execz .LBB16_35
; %bb.32:
	v_cmp_neq_f64_e32 vcc, 0, v[2:3]
	v_mov_b32_e32 v14, 0
	v_mov_b32_e32 v15, 0
	s_and_saveexec_b64 s[18:19], vcc
	s_cbranch_execz .LBB16_34
; %bb.33:
	v_div_scale_f64 v[14:15], s[22:23], v[12:13], v[12:13], v[10:11]
	s_mov_b32 s22, 0
	s_brev_b32 s23, 8
	v_mov_b32_e32 v5, 0x100
	v_mov_b32_e32 v7, 0x260
	v_rcp_f64_e32 v[16:17], v[14:15]
	v_fma_f64 v[18:19], -v[14:15], v[16:17], 1.0
	v_fma_f64 v[16:17], v[16:17], v[18:19], v[16:17]
	v_div_scale_f64 v[18:19], vcc, v[10:11], v[12:13], v[10:11]
	v_fma_f64 v[20:21], -v[14:15], v[16:17], 1.0
	v_fma_f64 v[16:17], v[16:17], v[20:21], v[16:17]
	v_mul_f64 v[20:21], v[18:19], v[16:17]
	v_fma_f64 v[14:15], -v[14:15], v[20:21], v[18:19]
	v_div_fmas_f64 v[14:15], v[14:15], v[16:17], v[20:21]
	v_div_fixup_f64 v[10:11], v[14:15], v[12:13], v[10:11]
	v_fma_f64 v[10:11], v[10:11], v[10:11], 1.0
	v_cmp_gt_f64_e32 vcc, s[22:23], v[10:11]
	v_cndmask_b32_e32 v5, 0, v5, vcc
	v_ldexp_f64 v[10:11], v[10:11], v5
	v_mov_b32_e32 v5, 0xffffff80
	v_cndmask_b32_e32 v5, 0, v5, vcc
	v_rsq_f64_e32 v[14:15], v[10:11]
	v_cmp_class_f64_e32 vcc, v[10:11], v7
	v_mul_f64 v[16:17], v[10:11], v[14:15]
	v_mul_f64 v[14:15], v[14:15], 0.5
	v_fma_f64 v[18:19], -v[14:15], v[16:17], 0.5
	v_fma_f64 v[16:17], v[16:17], v[18:19], v[16:17]
	v_fma_f64 v[14:15], v[14:15], v[18:19], v[14:15]
	v_fma_f64 v[18:19], -v[16:17], v[16:17], v[10:11]
	v_fma_f64 v[16:17], v[18:19], v[14:15], v[16:17]
	v_fma_f64 v[18:19], -v[16:17], v[16:17], v[10:11]
	v_fma_f64 v[14:15], v[18:19], v[14:15], v[16:17]
	v_ldexp_f64 v[14:15], v[14:15], v5
	v_cndmask_b32_e32 v11, v15, v11, vcc
	v_cndmask_b32_e32 v10, v14, v10, vcc
	v_mul_f64 v[14:15], v[12:13], v[10:11]
.LBB16_34:
	s_or_b64 exec, exec, s[18:19]
                                        ; implicit-def: $vgpr10_vgpr11
                                        ; implicit-def: $vgpr12_vgpr13
.LBB16_35:
	s_andn2_saveexec_b64 s[0:1], s[0:1]
	s_cbranch_execz .LBB16_37
; %bb.36:
	v_div_scale_f64 v[14:15], s[18:19], v[10:11], v[10:11], v[12:13]
	s_mov_b32 s18, 0
	s_brev_b32 s19, 8
	v_mov_b32_e32 v5, 0x100
	v_mov_b32_e32 v7, 0x260
	v_rcp_f64_e32 v[16:17], v[14:15]
	v_fma_f64 v[18:19], -v[14:15], v[16:17], 1.0
	v_fma_f64 v[16:17], v[16:17], v[18:19], v[16:17]
	v_div_scale_f64 v[18:19], vcc, v[12:13], v[10:11], v[12:13]
	v_fma_f64 v[20:21], -v[14:15], v[16:17], 1.0
	v_fma_f64 v[16:17], v[16:17], v[20:21], v[16:17]
	v_mul_f64 v[20:21], v[18:19], v[16:17]
	v_fma_f64 v[14:15], -v[14:15], v[20:21], v[18:19]
	v_div_fmas_f64 v[14:15], v[14:15], v[16:17], v[20:21]
	v_div_fixup_f64 v[12:13], v[14:15], v[10:11], v[12:13]
	v_fma_f64 v[12:13], v[12:13], v[12:13], 1.0
	v_cmp_gt_f64_e32 vcc, s[18:19], v[12:13]
	v_cndmask_b32_e32 v5, 0, v5, vcc
	v_ldexp_f64 v[12:13], v[12:13], v5
	v_mov_b32_e32 v5, 0xffffff80
	v_cndmask_b32_e32 v5, 0, v5, vcc
	v_rsq_f64_e32 v[14:15], v[12:13]
	v_cmp_class_f64_e32 vcc, v[12:13], v7
	v_mul_f64 v[16:17], v[12:13], v[14:15]
	v_mul_f64 v[14:15], v[14:15], 0.5
	v_fma_f64 v[18:19], -v[14:15], v[16:17], 0.5
	v_fma_f64 v[16:17], v[16:17], v[18:19], v[16:17]
	v_fma_f64 v[14:15], v[14:15], v[18:19], v[14:15]
	v_fma_f64 v[18:19], -v[16:17], v[16:17], v[12:13]
	v_fma_f64 v[16:17], v[18:19], v[14:15], v[16:17]
	v_fma_f64 v[18:19], -v[16:17], v[16:17], v[12:13]
	v_fma_f64 v[14:15], v[18:19], v[14:15], v[16:17]
	v_ldexp_f64 v[14:15], v[14:15], v5
	v_cndmask_b32_e32 v13, v15, v13, vcc
	v_cndmask_b32_e32 v12, v14, v12, vcc
	v_mul_f64 v[14:15], v[10:11], v[12:13]
.LBB16_37:
	s_or_b64 exec, exec, s[0:1]
	s_mov_b32 s0, 0
	s_mov_b32 s1, 0x38100000
	v_cmp_lt_f64_e32 vcc, s[0:1], v[14:15]
	s_and_b64 s[18:19], vcc, exec
.LBB16_38:
	s_or_b64 exec, exec, s[14:15]
	v_cndmask_b32_e64 v5, 0, 1, s[18:19]
	v_cmp_ne_u32_e32 vcc, 0, v5
	s_mov_b64 s[14:15], s[6:7]
	s_and_saveexec_b64 s[0:1], s[18:19]
	s_cbranch_execz .LBB16_42
; %bb.39:
	v_and_b32_e32 v9, vcc_hi, v9
	v_and_b32_e32 v8, vcc_lo, v8
	v_cmp_ne_u64_e32 vcc, 0, v[8:9]
	s_mov_b64 s[18:19], -1
	s_and_saveexec_b64 s[14:15], vcc
	s_xor_b64 s[14:15], exec, s[14:15]
	s_cbranch_execz .LBB16_41
; %bb.40:
	v_mov_b32_e32 v7, 0
	v_add_u32_e32 v6, 4, v6
	v_lshlrev_b64 v[5:6], 2, v[6:7]
	v_mov_b32_e32 v10, s13
	v_add_co_u32_e32 v5, vcc, s12, v5
	v_addc_co_u32_e32 v6, vcc, v10, v6, vcc
	global_load_dword v6, v[5:6], off
	v_ashrrev_i32_e32 v5, 31, v4
	v_lshlrev_b64 v[4:5], 2, v[4:5]
	v_mov_b32_e32 v10, s3
	v_add_co_u32_e32 v4, vcc, s2, v4
	v_addc_co_u32_e32 v5, vcc, v10, v5, vcc
	global_load_dword v4, v[4:5], off offset:1024
	v_bcnt_u32_b32 v5, v8, 0
	v_bcnt_u32_b32 v5, v9, v5
	v_mov_b32_e32 v8, s9
	v_mov_b32_e32 v10, s11
	s_xor_b64 s[18:19], exec, -1
	s_waitcnt vmcnt(1)
	v_add3_u32 v6, v5, v6, -1
	s_waitcnt vmcnt(0)
	v_add_u32_e32 v9, s28, v4
	v_lshlrev_b64 v[4:5], 4, v[6:7]
	v_lshlrev_b64 v[6:7], 2, v[6:7]
	v_add_co_u32_e32 v4, vcc, s8, v4
	v_addc_co_u32_e32 v5, vcc, v8, v5, vcc
	v_add_co_u32_e32 v6, vcc, s10, v6
	v_addc_co_u32_e32 v7, vcc, v10, v7, vcc
	global_store_dwordx4 v[4:5], v[0:3], off
	global_store_dword v[6:7], v9, off
.LBB16_41:
	s_or_b64 exec, exec, s[14:15]
	s_andn2_b64 s[2:3], s[6:7], exec
	s_and_b64 s[8:9], s[18:19], exec
	s_or_b64 s[14:15], s[2:3], s[8:9]
.LBB16_42:
	s_or_b64 exec, exec, s[0:1]
	s_andn2_b64 s[0:1], s[6:7], exec
	s_and_b64 s[2:3], s[14:15], exec
	s_or_b64 s[0:1], s[0:1], s[2:3]
.LBB16_43:
	s_or_b64 exec, exec, s[16:17]
	s_andn2_b64 s[2:3], s[6:7], exec
	s_and_b64 s[0:1], s[0:1], exec
	s_or_b64 s[6:7], s[2:3], s[0:1]
	s_or_b64 exec, exec, s[20:21]
	s_and_saveexec_b64 s[0:1], s[6:7]
	s_xor_b64 s[0:1], exec, s[0:1]
	s_cbranch_execz .LBB16_3
.LBB16_44:
	s_load_dwordx2 s[2:3], s[4:5], 0x98
	v_mbcnt_lo_u32_b32 v0, -1, 0
	v_mbcnt_hi_u32_b32 v32, -1, v0
	v_readfirstlane_b32 s0, v32
	v_mov_b32_e32 v5, 0
	v_mov_b32_e32 v6, 0
	v_cmp_eq_u32_e64 s[0:1], s0, v32
	s_and_saveexec_b64 s[4:5], s[0:1]
	s_cbranch_execz .LBB16_50
; %bb.45:
	v_mov_b32_e32 v0, 0
	s_waitcnt lgkmcnt(0)
	global_load_dwordx2 v[3:4], v0, s[2:3] offset:24 glc
	s_waitcnt vmcnt(0)
	buffer_wbinvl1_vol
	global_load_dwordx2 v[1:2], v0, s[2:3] offset:40
	global_load_dwordx2 v[5:6], v0, s[2:3]
	s_waitcnt vmcnt(1)
	v_and_b32_e32 v1, v1, v3
	v_and_b32_e32 v2, v2, v4
	v_mul_lo_u32 v2, v2, 24
	v_mul_hi_u32 v7, v1, 24
	v_mul_lo_u32 v1, v1, 24
	v_add_u32_e32 v2, v7, v2
	s_waitcnt vmcnt(0)
	v_add_co_u32_e32 v1, vcc, v5, v1
	v_addc_co_u32_e32 v2, vcc, v6, v2, vcc
	global_load_dwordx2 v[1:2], v[1:2], off glc
	s_waitcnt vmcnt(0)
	global_atomic_cmpswap_x2 v[5:6], v0, v[1:4], s[2:3] offset:24 glc
	s_waitcnt vmcnt(0)
	buffer_wbinvl1_vol
	v_cmp_ne_u64_e32 vcc, v[5:6], v[3:4]
	s_and_saveexec_b64 s[6:7], vcc
	s_cbranch_execz .LBB16_49
; %bb.46:
	s_mov_b64 s[8:9], 0
.LBB16_47:                              ; =>This Inner Loop Header: Depth=1
	s_sleep 1
	global_load_dwordx2 v[1:2], v0, s[2:3] offset:40
	global_load_dwordx2 v[7:8], v0, s[2:3]
	v_mov_b32_e32 v3, v5
	v_mov_b32_e32 v4, v6
	s_waitcnt vmcnt(1)
	v_and_b32_e32 v1, v1, v3
	s_waitcnt vmcnt(0)
	v_mad_u64_u32 v[5:6], s[10:11], v1, 24, v[7:8]
	v_and_b32_e32 v2, v2, v4
	v_mov_b32_e32 v1, v6
	v_mad_u64_u32 v[1:2], s[10:11], v2, 24, v[1:2]
	v_mov_b32_e32 v6, v1
	global_load_dwordx2 v[1:2], v[5:6], off glc
	s_waitcnt vmcnt(0)
	global_atomic_cmpswap_x2 v[5:6], v0, v[1:4], s[2:3] offset:24 glc
	s_waitcnt vmcnt(0)
	buffer_wbinvl1_vol
	v_cmp_eq_u64_e32 vcc, v[5:6], v[3:4]
	s_or_b64 s[8:9], vcc, s[8:9]
	s_andn2_b64 exec, exec, s[8:9]
	s_cbranch_execnz .LBB16_47
; %bb.48:
	s_or_b64 exec, exec, s[8:9]
.LBB16_49:
	s_or_b64 exec, exec, s[6:7]
.LBB16_50:
	s_or_b64 exec, exec, s[4:5]
	v_mov_b32_e32 v4, 0
	s_waitcnt lgkmcnt(0)
	global_load_dwordx2 v[7:8], v4, s[2:3] offset:40
	global_load_dwordx4 v[0:3], v4, s[2:3]
	v_readfirstlane_b32 s5, v6
	v_readfirstlane_b32 s4, v5
	s_mov_b64 s[6:7], exec
	s_waitcnt vmcnt(1)
	v_readfirstlane_b32 s8, v7
	v_readfirstlane_b32 s9, v8
	s_and_b64 s[8:9], s[8:9], s[4:5]
	s_mul_i32 s10, s9, 24
	s_mul_hi_u32 s11, s8, 24
	s_mul_i32 s12, s8, 24
	s_add_i32 s10, s11, s10
	v_mov_b32_e32 v5, s10
	s_waitcnt vmcnt(0)
	v_add_co_u32_e32 v7, vcc, s12, v0
	v_addc_co_u32_e32 v8, vcc, v1, v5, vcc
	s_and_saveexec_b64 s[10:11], s[0:1]
	s_cbranch_execz .LBB16_52
; %bb.51:
	v_mov_b32_e32 v10, s7
	v_mov_b32_e32 v9, s6
	v_mov_b32_e32 v11, 2
	v_mov_b32_e32 v12, 1
	global_store_dwordx4 v[7:8], v[9:12], off offset:8
.LBB16_52:
	s_or_b64 exec, exec, s[10:11]
	s_lshl_b64 s[6:7], s[8:9], 12
	v_mov_b32_e32 v5, s7
	v_add_co_u32_e32 v2, vcc, s6, v2
	v_addc_co_u32_e32 v11, vcc, v3, v5, vcc
	v_lshlrev_b32_e32 v31, 6, v32
	s_mov_b32 s8, 0
	v_mov_b32_e32 v3, 33
	v_mov_b32_e32 v5, v4
	;; [unrolled: 1-line block ×3, first 2 shown]
	v_readfirstlane_b32 s6, v2
	v_readfirstlane_b32 s7, v11
	v_add_co_u32_e32 v9, vcc, v2, v31
	s_mov_b32 s9, s8
	s_mov_b32 s10, s8
	;; [unrolled: 1-line block ×3, first 2 shown]
	s_nop 0
	global_store_dwordx4 v31, v[3:6], s[6:7]
	v_mov_b32_e32 v2, s8
	v_addc_co_u32_e32 v10, vcc, 0, v11, vcc
	v_mov_b32_e32 v3, s9
	v_mov_b32_e32 v4, s10
	;; [unrolled: 1-line block ×3, first 2 shown]
	global_store_dwordx4 v31, v[2:5], s[6:7] offset:16
	global_store_dwordx4 v31, v[2:5], s[6:7] offset:32
	;; [unrolled: 1-line block ×3, first 2 shown]
	s_and_saveexec_b64 s[6:7], s[0:1]
	s_cbranch_execz .LBB16_60
; %bb.53:
	v_mov_b32_e32 v6, 0
	global_load_dwordx2 v[13:14], v6, s[2:3] offset:32 glc
	global_load_dwordx2 v[2:3], v6, s[2:3] offset:40
	v_mov_b32_e32 v11, s4
	v_mov_b32_e32 v12, s5
	s_waitcnt vmcnt(0)
	v_and_b32_e32 v2, s4, v2
	v_and_b32_e32 v3, s5, v3
	v_mul_lo_u32 v3, v3, 24
	v_mul_hi_u32 v4, v2, 24
	v_mul_lo_u32 v2, v2, 24
	v_add_u32_e32 v3, v4, v3
	v_add_co_u32_e32 v4, vcc, v0, v2
	v_addc_co_u32_e32 v5, vcc, v1, v3, vcc
	global_store_dwordx2 v[4:5], v[13:14], off
	s_waitcnt vmcnt(0)
	global_atomic_cmpswap_x2 v[2:3], v6, v[11:14], s[2:3] offset:32 glc
	s_waitcnt vmcnt(0)
	v_cmp_ne_u64_e32 vcc, v[2:3], v[13:14]
	s_and_saveexec_b64 s[8:9], vcc
	s_cbranch_execz .LBB16_56
; %bb.54:
	s_mov_b64 s[10:11], 0
.LBB16_55:                              ; =>This Inner Loop Header: Depth=1
	s_sleep 1
	global_store_dwordx2 v[4:5], v[2:3], off
	v_mov_b32_e32 v0, s4
	v_mov_b32_e32 v1, s5
	s_waitcnt vmcnt(0)
	global_atomic_cmpswap_x2 v[0:1], v6, v[0:3], s[2:3] offset:32 glc
	s_waitcnt vmcnt(0)
	v_cmp_eq_u64_e32 vcc, v[0:1], v[2:3]
	v_mov_b32_e32 v3, v1
	s_or_b64 s[10:11], vcc, s[10:11]
	v_mov_b32_e32 v2, v0
	s_andn2_b64 exec, exec, s[10:11]
	s_cbranch_execnz .LBB16_55
.LBB16_56:
	s_or_b64 exec, exec, s[8:9]
	v_mov_b32_e32 v3, 0
	global_load_dwordx2 v[0:1], v3, s[2:3] offset:16
	s_mov_b64 s[8:9], exec
	v_mbcnt_lo_u32_b32 v2, s8, 0
	v_mbcnt_hi_u32_b32 v2, s9, v2
	v_cmp_eq_u32_e32 vcc, 0, v2
	s_and_saveexec_b64 s[10:11], vcc
	s_cbranch_execz .LBB16_58
; %bb.57:
	s_bcnt1_i32_b64 s8, s[8:9]
	v_mov_b32_e32 v2, s8
	s_waitcnt vmcnt(0)
	global_atomic_add_x2 v[0:1], v[2:3], off offset:8
.LBB16_58:
	s_or_b64 exec, exec, s[10:11]
	s_waitcnt vmcnt(0)
	global_load_dwordx2 v[2:3], v[0:1], off offset:16
	s_waitcnt vmcnt(0)
	v_cmp_eq_u64_e32 vcc, 0, v[2:3]
	s_cbranch_vccnz .LBB16_60
; %bb.59:
	global_load_dword v0, v[0:1], off offset:24
	v_mov_b32_e32 v1, 0
	s_waitcnt vmcnt(0)
	v_readfirstlane_b32 s8, v0
	s_and_b32 m0, s8, 0xffffff
	global_store_dwordx2 v[2:3], v[0:1], off
	s_sendmsg sendmsg(MSG_INTERRUPT)
.LBB16_60:
	s_or_b64 exec, exec, s[6:7]
	s_branch .LBB16_64
.LBB16_61:                              ;   in Loop: Header=BB16_64 Depth=1
	s_or_b64 exec, exec, s[6:7]
	v_readfirstlane_b32 s6, v0
	s_cmp_eq_u32 s6, 0
	s_cbranch_scc1 .LBB16_63
; %bb.62:                               ;   in Loop: Header=BB16_64 Depth=1
	s_sleep 1
	s_cbranch_execnz .LBB16_64
	s_branch .LBB16_66
.LBB16_63:
	s_branch .LBB16_66
.LBB16_64:                              ; =>This Inner Loop Header: Depth=1
	v_mov_b32_e32 v0, 1
	s_and_saveexec_b64 s[6:7], s[0:1]
	s_cbranch_execz .LBB16_61
; %bb.65:                               ;   in Loop: Header=BB16_64 Depth=1
	global_load_dword v0, v[7:8], off offset:20 glc
	s_waitcnt vmcnt(0)
	buffer_wbinvl1_vol
	v_and_b32_e32 v0, 1, v0
	s_branch .LBB16_61
.LBB16_66:
	global_load_dwordx2 v[0:1], v[9:10], off
	s_and_saveexec_b64 s[6:7], s[0:1]
	s_cbranch_execz .LBB16_69
; %bb.67:
	v_mov_b32_e32 v8, 0
	global_load_dwordx2 v[2:3], v8, s[2:3] offset:40
	global_load_dwordx2 v[11:12], v8, s[2:3] offset:24 glc
	global_load_dwordx2 v[4:5], v8, s[2:3]
	s_waitcnt vmcnt(2)
	v_readfirstlane_b32 s8, v2
	v_readfirstlane_b32 s9, v3
	s_add_u32 s10, s8, 1
	s_addc_u32 s11, s9, 0
	s_add_u32 s0, s10, s4
	s_addc_u32 s1, s11, s5
	s_cmp_eq_u64 s[0:1], 0
	s_cselect_b32 s1, s11, s1
	s_cselect_b32 s0, s10, s0
	s_and_b64 s[4:5], s[0:1], s[8:9]
	s_mul_i32 s5, s5, 24
	s_mul_hi_u32 s8, s4, 24
	s_mul_i32 s4, s4, 24
	s_add_i32 s5, s8, s5
	v_mov_b32_e32 v2, s5
	s_waitcnt vmcnt(0)
	v_add_co_u32_e32 v6, vcc, s4, v4
	v_addc_co_u32_e32 v7, vcc, v5, v2, vcc
	v_mov_b32_e32 v9, s0
	global_store_dwordx2 v[6:7], v[11:12], off
	v_mov_b32_e32 v10, s1
	s_waitcnt vmcnt(0)
	global_atomic_cmpswap_x2 v[4:5], v8, v[9:12], s[2:3] offset:24 glc
	s_mov_b64 s[4:5], 0
	s_waitcnt vmcnt(0)
	v_cmp_ne_u64_e32 vcc, v[4:5], v[11:12]
	s_and_b64 exec, exec, vcc
	s_cbranch_execz .LBB16_69
.LBB16_68:                              ; =>This Inner Loop Header: Depth=1
	s_sleep 1
	global_store_dwordx2 v[6:7], v[4:5], off
	v_mov_b32_e32 v2, s0
	v_mov_b32_e32 v3, s1
	s_waitcnt vmcnt(0)
	global_atomic_cmpswap_x2 v[2:3], v8, v[2:5], s[2:3] offset:24 glc
	s_waitcnt vmcnt(0)
	v_cmp_eq_u64_e32 vcc, v[2:3], v[4:5]
	v_mov_b32_e32 v5, v3
	s_or_b64 s[4:5], vcc, s[4:5]
	v_mov_b32_e32 v4, v2
	s_andn2_b64 exec, exec, s[4:5]
	s_cbranch_execnz .LBB16_68
.LBB16_69:
	s_or_b64 exec, exec, s[6:7]
	s_getpc_b64 s[4:5]
	s_add_u32 s4, s4, .str.2@rel32@lo+4
	s_addc_u32 s5, s5, .str.2@rel32@hi+12
	s_cmp_lg_u64 s[4:5], 0
	s_cselect_b64 s[0:1], -1, 0
	s_cmp_eq_u64 s[4:5], 0
	s_mov_b64 s[4:5], 0
	s_cbranch_scc1 .LBB16_73
; %bb.70:
	v_mov_b32_e32 v2, 0
	s_getpc_b64 s[4:5]
	s_add_u32 s4, s4, .str.2@rel32@lo+3
	s_addc_u32 s5, s5, .str.2@rel32@hi+11
.LBB16_71:                              ; =>This Inner Loop Header: Depth=1
	global_load_ubyte v3, v2, s[4:5] offset:1
	s_add_u32 s6, s4, 1
	s_addc_u32 s7, s5, 0
	s_mov_b64 s[4:5], s[6:7]
	s_waitcnt vmcnt(0)
	v_cmp_ne_u32_e32 vcc, 0, v3
	s_cbranch_vccnz .LBB16_71
; %bb.72:
	s_getpc_b64 s[4:5]
	s_add_u32 s4, s4, .str.2@rel32@lo+4
	s_addc_u32 s5, s5, .str.2@rel32@hi+12
	s_sub_u32 s4, s6, s4
	s_subb_u32 s5, s7, s5
	s_add_u32 s4, s4, 1
	s_addc_u32 s5, s5, 0
.LBB16_73:
	s_and_b64 vcc, exec, s[0:1]
	s_cbranch_vccz .LBB16_158
; %bb.74:
	s_waitcnt vmcnt(0)
	v_and_b32_e32 v33, 2, v0
	v_mov_b32_e32 v28, 0
	v_and_b32_e32 v4, -3, v0
	v_mov_b32_e32 v5, v1
	v_mov_b32_e32 v10, 2
	;; [unrolled: 1-line block ×3, first 2 shown]
	s_getpc_b64 s[6:7]
	s_add_u32 s6, s6, .str.2@rel32@lo+4
	s_addc_u32 s7, s7, .str.2@rel32@hi+12
	s_branch .LBB16_76
.LBB16_75:                              ;   in Loop: Header=BB16_76 Depth=1
	s_or_b64 exec, exec, s[12:13]
	s_sub_u32 s4, s4, s8
	s_subb_u32 s5, s5, s9
	s_add_u32 s6, s6, s8
	s_addc_u32 s7, s7, s9
	s_cmp_lg_u64 s[4:5], 0
	s_cbranch_scc0 .LBB16_159
.LBB16_76:                              ; =>This Loop Header: Depth=1
                                        ;     Child Loop BB16_79 Depth 2
                                        ;     Child Loop BB16_87 Depth 2
	;; [unrolled: 1-line block ×11, first 2 shown]
	v_cmp_lt_u64_e64 s[0:1], s[4:5], 56
	v_cmp_gt_u64_e64 s[10:11], s[4:5], 7
	s_and_b64 s[0:1], s[0:1], exec
	s_cselect_b32 s9, s5, 0
	s_cselect_b32 s8, s4, 56
	s_add_u32 s0, s6, 8
	s_addc_u32 s1, s7, 0
	s_and_b64 vcc, exec, s[10:11]
	s_cbranch_vccnz .LBB16_80
; %bb.77:                               ;   in Loop: Header=BB16_76 Depth=1
	s_cmp_eq_u64 s[4:5], 0
	s_cbranch_scc1 .LBB16_81
; %bb.78:                               ;   in Loop: Header=BB16_76 Depth=1
	v_mov_b32_e32 v6, 0
	s_lshl_b64 s[0:1], s[8:9], 3
	s_mov_b64 s[10:11], 0
	v_mov_b32_e32 v7, 0
	s_mov_b64 s[12:13], s[6:7]
.LBB16_79:                              ;   Parent Loop BB16_76 Depth=1
                                        ; =>  This Inner Loop Header: Depth=2
	global_load_ubyte v2, v28, s[12:13]
	s_waitcnt vmcnt(0)
	v_and_b32_e32 v27, 0xffff, v2
	v_lshlrev_b64 v[2:3], s10, v[27:28]
	s_add_u32 s10, s10, 8
	s_addc_u32 s11, s11, 0
	s_add_u32 s12, s12, 1
	s_addc_u32 s13, s13, 0
	v_or_b32_e32 v6, v2, v6
	s_cmp_lg_u32 s0, s10
	v_or_b32_e32 v7, v3, v7
	s_cbranch_scc1 .LBB16_79
	s_branch .LBB16_82
.LBB16_80:                              ;   in Loop: Header=BB16_76 Depth=1
	s_mov_b32 s14, 0
	s_branch .LBB16_83
.LBB16_81:                              ;   in Loop: Header=BB16_76 Depth=1
	v_mov_b32_e32 v6, 0
	v_mov_b32_e32 v7, 0
.LBB16_82:                              ;   in Loop: Header=BB16_76 Depth=1
	s_mov_b64 s[0:1], s[6:7]
	s_mov_b32 s14, 0
	s_cbranch_execnz .LBB16_84
.LBB16_83:                              ;   in Loop: Header=BB16_76 Depth=1
	global_load_dwordx2 v[6:7], v28, s[6:7]
	s_add_i32 s14, s8, -8
.LBB16_84:                              ;   in Loop: Header=BB16_76 Depth=1
	s_add_u32 s10, s0, 8
	s_addc_u32 s11, s1, 0
	s_cmp_gt_u32 s14, 7
	s_cbranch_scc1 .LBB16_88
; %bb.85:                               ;   in Loop: Header=BB16_76 Depth=1
	s_cmp_eq_u32 s14, 0
	s_cbranch_scc1 .LBB16_89
; %bb.86:                               ;   in Loop: Header=BB16_76 Depth=1
	v_mov_b32_e32 v12, 0
	s_mov_b64 s[10:11], 0
	v_mov_b32_e32 v13, 0
	s_mov_b64 s[12:13], 0
.LBB16_87:                              ;   Parent Loop BB16_76 Depth=1
                                        ; =>  This Inner Loop Header: Depth=2
	s_add_u32 s16, s0, s12
	s_addc_u32 s17, s1, s13
	global_load_ubyte v2, v28, s[16:17]
	s_add_u32 s12, s12, 1
	s_addc_u32 s13, s13, 0
	s_waitcnt vmcnt(0)
	v_and_b32_e32 v27, 0xffff, v2
	v_lshlrev_b64 v[2:3], s10, v[27:28]
	s_add_u32 s10, s10, 8
	s_addc_u32 s11, s11, 0
	v_or_b32_e32 v12, v2, v12
	s_cmp_lg_u32 s14, s12
	v_or_b32_e32 v13, v3, v13
	s_cbranch_scc1 .LBB16_87
	s_branch .LBB16_90
.LBB16_88:                              ;   in Loop: Header=BB16_76 Depth=1
                                        ; implicit-def: $vgpr12_vgpr13
	s_mov_b32 s15, 0
	s_branch .LBB16_91
.LBB16_89:                              ;   in Loop: Header=BB16_76 Depth=1
	v_mov_b32_e32 v12, 0
	v_mov_b32_e32 v13, 0
.LBB16_90:                              ;   in Loop: Header=BB16_76 Depth=1
	s_mov_b64 s[10:11], s[0:1]
	s_mov_b32 s15, 0
	s_cbranch_execnz .LBB16_92
.LBB16_91:                              ;   in Loop: Header=BB16_76 Depth=1
	global_load_dwordx2 v[12:13], v28, s[0:1]
	s_add_i32 s15, s14, -8
.LBB16_92:                              ;   in Loop: Header=BB16_76 Depth=1
	s_add_u32 s0, s10, 8
	s_addc_u32 s1, s11, 0
	s_cmp_gt_u32 s15, 7
	s_cbranch_scc1 .LBB16_96
; %bb.93:                               ;   in Loop: Header=BB16_76 Depth=1
	s_cmp_eq_u32 s15, 0
	s_cbranch_scc1 .LBB16_97
; %bb.94:                               ;   in Loop: Header=BB16_76 Depth=1
	v_mov_b32_e32 v14, 0
	s_mov_b64 s[0:1], 0
	v_mov_b32_e32 v15, 0
	s_mov_b64 s[12:13], 0
.LBB16_95:                              ;   Parent Loop BB16_76 Depth=1
                                        ; =>  This Inner Loop Header: Depth=2
	s_add_u32 s16, s10, s12
	s_addc_u32 s17, s11, s13
	global_load_ubyte v2, v28, s[16:17]
	s_add_u32 s12, s12, 1
	s_addc_u32 s13, s13, 0
	s_waitcnt vmcnt(0)
	v_and_b32_e32 v27, 0xffff, v2
	v_lshlrev_b64 v[2:3], s0, v[27:28]
	s_add_u32 s0, s0, 8
	s_addc_u32 s1, s1, 0
	v_or_b32_e32 v14, v2, v14
	s_cmp_lg_u32 s15, s12
	v_or_b32_e32 v15, v3, v15
	s_cbranch_scc1 .LBB16_95
	s_branch .LBB16_98
.LBB16_96:                              ;   in Loop: Header=BB16_76 Depth=1
	s_mov_b32 s14, 0
	s_branch .LBB16_99
.LBB16_97:                              ;   in Loop: Header=BB16_76 Depth=1
	v_mov_b32_e32 v14, 0
	v_mov_b32_e32 v15, 0
.LBB16_98:                              ;   in Loop: Header=BB16_76 Depth=1
	s_mov_b64 s[0:1], s[10:11]
	s_mov_b32 s14, 0
	s_cbranch_execnz .LBB16_100
.LBB16_99:                              ;   in Loop: Header=BB16_76 Depth=1
	global_load_dwordx2 v[14:15], v28, s[10:11]
	s_add_i32 s14, s15, -8
.LBB16_100:                             ;   in Loop: Header=BB16_76 Depth=1
	s_add_u32 s10, s0, 8
	s_addc_u32 s11, s1, 0
	s_cmp_gt_u32 s14, 7
	s_cbranch_scc1 .LBB16_104
; %bb.101:                              ;   in Loop: Header=BB16_76 Depth=1
	s_cmp_eq_u32 s14, 0
	s_cbranch_scc1 .LBB16_105
; %bb.102:                              ;   in Loop: Header=BB16_76 Depth=1
	v_mov_b32_e32 v16, 0
	s_mov_b64 s[10:11], 0
	v_mov_b32_e32 v17, 0
	s_mov_b64 s[12:13], 0
.LBB16_103:                             ;   Parent Loop BB16_76 Depth=1
                                        ; =>  This Inner Loop Header: Depth=2
	s_add_u32 s16, s0, s12
	s_addc_u32 s17, s1, s13
	global_load_ubyte v2, v28, s[16:17]
	s_add_u32 s12, s12, 1
	s_addc_u32 s13, s13, 0
	s_waitcnt vmcnt(0)
	v_and_b32_e32 v27, 0xffff, v2
	v_lshlrev_b64 v[2:3], s10, v[27:28]
	s_add_u32 s10, s10, 8
	s_addc_u32 s11, s11, 0
	v_or_b32_e32 v16, v2, v16
	s_cmp_lg_u32 s14, s12
	v_or_b32_e32 v17, v3, v17
	s_cbranch_scc1 .LBB16_103
	s_branch .LBB16_106
.LBB16_104:                             ;   in Loop: Header=BB16_76 Depth=1
                                        ; implicit-def: $vgpr16_vgpr17
	s_mov_b32 s15, 0
	s_branch .LBB16_107
.LBB16_105:                             ;   in Loop: Header=BB16_76 Depth=1
	v_mov_b32_e32 v16, 0
	v_mov_b32_e32 v17, 0
.LBB16_106:                             ;   in Loop: Header=BB16_76 Depth=1
	s_mov_b64 s[10:11], s[0:1]
	s_mov_b32 s15, 0
	s_cbranch_execnz .LBB16_108
.LBB16_107:                             ;   in Loop: Header=BB16_76 Depth=1
	global_load_dwordx2 v[16:17], v28, s[0:1]
	s_add_i32 s15, s14, -8
.LBB16_108:                             ;   in Loop: Header=BB16_76 Depth=1
	s_add_u32 s0, s10, 8
	s_addc_u32 s1, s11, 0
	s_cmp_gt_u32 s15, 7
	s_cbranch_scc1 .LBB16_112
; %bb.109:                              ;   in Loop: Header=BB16_76 Depth=1
	s_cmp_eq_u32 s15, 0
	s_cbranch_scc1 .LBB16_113
; %bb.110:                              ;   in Loop: Header=BB16_76 Depth=1
	v_mov_b32_e32 v18, 0
	s_mov_b64 s[0:1], 0
	v_mov_b32_e32 v19, 0
	s_mov_b64 s[12:13], 0
.LBB16_111:                             ;   Parent Loop BB16_76 Depth=1
                                        ; =>  This Inner Loop Header: Depth=2
	s_add_u32 s16, s10, s12
	s_addc_u32 s17, s11, s13
	global_load_ubyte v2, v28, s[16:17]
	s_add_u32 s12, s12, 1
	s_addc_u32 s13, s13, 0
	s_waitcnt vmcnt(0)
	v_and_b32_e32 v27, 0xffff, v2
	v_lshlrev_b64 v[2:3], s0, v[27:28]
	s_add_u32 s0, s0, 8
	s_addc_u32 s1, s1, 0
	v_or_b32_e32 v18, v2, v18
	s_cmp_lg_u32 s15, s12
	v_or_b32_e32 v19, v3, v19
	s_cbranch_scc1 .LBB16_111
	s_branch .LBB16_114
.LBB16_112:                             ;   in Loop: Header=BB16_76 Depth=1
	s_mov_b32 s14, 0
	s_branch .LBB16_115
.LBB16_113:                             ;   in Loop: Header=BB16_76 Depth=1
	v_mov_b32_e32 v18, 0
	v_mov_b32_e32 v19, 0
.LBB16_114:                             ;   in Loop: Header=BB16_76 Depth=1
	s_mov_b64 s[0:1], s[10:11]
	s_mov_b32 s14, 0
	s_cbranch_execnz .LBB16_116
.LBB16_115:                             ;   in Loop: Header=BB16_76 Depth=1
	global_load_dwordx2 v[18:19], v28, s[10:11]
	s_add_i32 s14, s15, -8
.LBB16_116:                             ;   in Loop: Header=BB16_76 Depth=1
	s_add_u32 s10, s0, 8
	s_addc_u32 s11, s1, 0
	s_cmp_gt_u32 s14, 7
	s_cbranch_scc1 .LBB16_120
; %bb.117:                              ;   in Loop: Header=BB16_76 Depth=1
	s_cmp_eq_u32 s14, 0
	s_cbranch_scc1 .LBB16_121
; %bb.118:                              ;   in Loop: Header=BB16_76 Depth=1
	v_mov_b32_e32 v20, 0
	s_mov_b64 s[10:11], 0
	v_mov_b32_e32 v21, 0
	s_mov_b64 s[12:13], 0
.LBB16_119:                             ;   Parent Loop BB16_76 Depth=1
                                        ; =>  This Inner Loop Header: Depth=2
	s_add_u32 s16, s0, s12
	s_addc_u32 s17, s1, s13
	global_load_ubyte v2, v28, s[16:17]
	s_add_u32 s12, s12, 1
	s_addc_u32 s13, s13, 0
	s_waitcnt vmcnt(0)
	v_and_b32_e32 v27, 0xffff, v2
	v_lshlrev_b64 v[2:3], s10, v[27:28]
	s_add_u32 s10, s10, 8
	s_addc_u32 s11, s11, 0
	v_or_b32_e32 v20, v2, v20
	s_cmp_lg_u32 s14, s12
	v_or_b32_e32 v21, v3, v21
	s_cbranch_scc1 .LBB16_119
	s_branch .LBB16_122
.LBB16_120:                             ;   in Loop: Header=BB16_76 Depth=1
                                        ; implicit-def: $vgpr20_vgpr21
	s_mov_b32 s15, 0
	s_branch .LBB16_123
.LBB16_121:                             ;   in Loop: Header=BB16_76 Depth=1
	v_mov_b32_e32 v20, 0
	v_mov_b32_e32 v21, 0
.LBB16_122:                             ;   in Loop: Header=BB16_76 Depth=1
	s_mov_b64 s[10:11], s[0:1]
	s_mov_b32 s15, 0
	s_cbranch_execnz .LBB16_124
.LBB16_123:                             ;   in Loop: Header=BB16_76 Depth=1
	global_load_dwordx2 v[20:21], v28, s[0:1]
	s_add_i32 s15, s14, -8
.LBB16_124:                             ;   in Loop: Header=BB16_76 Depth=1
	s_cmp_gt_u32 s15, 7
	s_cbranch_scc1 .LBB16_128
; %bb.125:                              ;   in Loop: Header=BB16_76 Depth=1
	s_cmp_eq_u32 s15, 0
	s_cbranch_scc1 .LBB16_129
; %bb.126:                              ;   in Loop: Header=BB16_76 Depth=1
	v_mov_b32_e32 v22, 0
	s_mov_b64 s[0:1], 0
	v_mov_b32_e32 v23, 0
	s_mov_b64 s[12:13], s[10:11]
.LBB16_127:                             ;   Parent Loop BB16_76 Depth=1
                                        ; =>  This Inner Loop Header: Depth=2
	global_load_ubyte v2, v28, s[12:13]
	s_add_i32 s15, s15, -1
	s_waitcnt vmcnt(0)
	v_and_b32_e32 v27, 0xffff, v2
	v_lshlrev_b64 v[2:3], s0, v[27:28]
	s_add_u32 s0, s0, 8
	s_addc_u32 s1, s1, 0
	s_add_u32 s12, s12, 1
	s_addc_u32 s13, s13, 0
	v_or_b32_e32 v22, v2, v22
	s_cmp_lg_u32 s15, 0
	v_or_b32_e32 v23, v3, v23
	s_cbranch_scc1 .LBB16_127
	s_branch .LBB16_130
.LBB16_128:                             ;   in Loop: Header=BB16_76 Depth=1
	s_branch .LBB16_131
.LBB16_129:                             ;   in Loop: Header=BB16_76 Depth=1
	v_mov_b32_e32 v22, 0
	v_mov_b32_e32 v23, 0
.LBB16_130:                             ;   in Loop: Header=BB16_76 Depth=1
	s_cbranch_execnz .LBB16_132
.LBB16_131:                             ;   in Loop: Header=BB16_76 Depth=1
	global_load_dwordx2 v[22:23], v28, s[10:11]
.LBB16_132:                             ;   in Loop: Header=BB16_76 Depth=1
	v_readfirstlane_b32 s0, v32
	v_mov_b32_e32 v2, 0
	v_mov_b32_e32 v3, 0
	v_cmp_eq_u32_e64 s[0:1], s0, v32
	s_and_saveexec_b64 s[10:11], s[0:1]
	s_cbranch_execz .LBB16_138
; %bb.133:                              ;   in Loop: Header=BB16_76 Depth=1
	global_load_dwordx2 v[26:27], v28, s[2:3] offset:24 glc
	s_waitcnt vmcnt(0)
	buffer_wbinvl1_vol
	global_load_dwordx2 v[2:3], v28, s[2:3] offset:40
	global_load_dwordx2 v[8:9], v28, s[2:3]
	s_waitcnt vmcnt(1)
	v_and_b32_e32 v2, v2, v26
	v_and_b32_e32 v3, v3, v27
	v_mul_lo_u32 v3, v3, 24
	v_mul_hi_u32 v24, v2, 24
	v_mul_lo_u32 v2, v2, 24
	v_add_u32_e32 v3, v24, v3
	s_waitcnt vmcnt(0)
	v_add_co_u32_e32 v2, vcc, v8, v2
	v_addc_co_u32_e32 v3, vcc, v9, v3, vcc
	global_load_dwordx2 v[24:25], v[2:3], off glc
	s_waitcnt vmcnt(0)
	global_atomic_cmpswap_x2 v[2:3], v28, v[24:27], s[2:3] offset:24 glc
	s_waitcnt vmcnt(0)
	buffer_wbinvl1_vol
	v_cmp_ne_u64_e32 vcc, v[2:3], v[26:27]
	s_and_saveexec_b64 s[12:13], vcc
	s_cbranch_execz .LBB16_137
; %bb.134:                              ;   in Loop: Header=BB16_76 Depth=1
	s_mov_b64 s[14:15], 0
.LBB16_135:                             ;   Parent Loop BB16_76 Depth=1
                                        ; =>  This Inner Loop Header: Depth=2
	s_sleep 1
	global_load_dwordx2 v[8:9], v28, s[2:3] offset:40
	global_load_dwordx2 v[24:25], v28, s[2:3]
	v_mov_b32_e32 v27, v3
	v_mov_b32_e32 v26, v2
	s_waitcnt vmcnt(1)
	v_and_b32_e32 v2, v8, v26
	s_waitcnt vmcnt(0)
	v_mad_u64_u32 v[2:3], s[16:17], v2, 24, v[24:25]
	v_and_b32_e32 v8, v9, v27
	v_mad_u64_u32 v[8:9], s[16:17], v8, 24, v[3:4]
	v_mov_b32_e32 v3, v8
	global_load_dwordx2 v[24:25], v[2:3], off glc
	s_waitcnt vmcnt(0)
	global_atomic_cmpswap_x2 v[2:3], v28, v[24:27], s[2:3] offset:24 glc
	s_waitcnt vmcnt(0)
	buffer_wbinvl1_vol
	v_cmp_eq_u64_e32 vcc, v[2:3], v[26:27]
	s_or_b64 s[14:15], vcc, s[14:15]
	s_andn2_b64 exec, exec, s[14:15]
	s_cbranch_execnz .LBB16_135
; %bb.136:                              ;   in Loop: Header=BB16_76 Depth=1
	s_or_b64 exec, exec, s[14:15]
.LBB16_137:                             ;   in Loop: Header=BB16_76 Depth=1
	s_or_b64 exec, exec, s[12:13]
.LBB16_138:                             ;   in Loop: Header=BB16_76 Depth=1
	s_or_b64 exec, exec, s[10:11]
	global_load_dwordx2 v[8:9], v28, s[2:3] offset:40
	global_load_dwordx4 v[24:27], v28, s[2:3]
	v_readfirstlane_b32 s11, v3
	v_readfirstlane_b32 s10, v2
	s_mov_b64 s[12:13], exec
	s_waitcnt vmcnt(1)
	v_readfirstlane_b32 s14, v8
	v_readfirstlane_b32 s15, v9
	s_and_b64 s[14:15], s[14:15], s[10:11]
	s_mul_i32 s16, s15, 24
	s_mul_hi_u32 s17, s14, 24
	s_mul_i32 s18, s14, 24
	s_add_i32 s16, s17, s16
	v_mov_b32_e32 v2, s16
	s_waitcnt vmcnt(0)
	v_add_co_u32_e32 v29, vcc, s18, v24
	v_addc_co_u32_e32 v30, vcc, v25, v2, vcc
	s_and_saveexec_b64 s[16:17], s[0:1]
	s_cbranch_execz .LBB16_140
; %bb.139:                              ;   in Loop: Header=BB16_76 Depth=1
	v_mov_b32_e32 v8, s12
	v_mov_b32_e32 v9, s13
	global_store_dwordx4 v[29:30], v[8:11], off offset:8
.LBB16_140:                             ;   in Loop: Header=BB16_76 Depth=1
	s_or_b64 exec, exec, s[16:17]
	s_lshl_b64 s[12:13], s[14:15], 12
	v_mov_b32_e32 v2, s13
	v_add_co_u32_e32 v8, vcc, s12, v26
	v_addc_co_u32_e32 v9, vcc, v27, v2, vcc
	v_cmp_lt_u64_e64 vcc, s[4:5], 57
	s_lshl_b32 s12, s8, 2
	v_cndmask_b32_e32 v2, 0, v33, vcc
	s_add_i32 s12, s12, 28
	v_and_b32_e32 v3, 0xffffff1f, v4
	s_and_b32 s12, s12, 0x1e0
	v_or_b32_e32 v2, v3, v2
	v_or_b32_e32 v4, s12, v2
	v_readfirstlane_b32 s12, v8
	v_readfirstlane_b32 s13, v9
	s_nop 4
	global_store_dwordx4 v31, v[4:7], s[12:13]
	global_store_dwordx4 v31, v[12:15], s[12:13] offset:16
	global_store_dwordx4 v31, v[16:19], s[12:13] offset:32
	;; [unrolled: 1-line block ×3, first 2 shown]
	s_and_saveexec_b64 s[12:13], s[0:1]
	s_cbranch_execz .LBB16_148
; %bb.141:                              ;   in Loop: Header=BB16_76 Depth=1
	global_load_dwordx2 v[14:15], v28, s[2:3] offset:32 glc
	global_load_dwordx2 v[2:3], v28, s[2:3] offset:40
	v_mov_b32_e32 v12, s10
	v_mov_b32_e32 v13, s11
	s_waitcnt vmcnt(0)
	v_readfirstlane_b32 s14, v2
	v_readfirstlane_b32 s15, v3
	s_and_b64 s[14:15], s[14:15], s[10:11]
	s_mul_i32 s15, s15, 24
	s_mul_hi_u32 s16, s14, 24
	s_mul_i32 s14, s14, 24
	s_add_i32 s15, s16, s15
	v_mov_b32_e32 v2, s15
	v_add_co_u32_e32 v6, vcc, s14, v24
	v_addc_co_u32_e32 v7, vcc, v25, v2, vcc
	global_store_dwordx2 v[6:7], v[14:15], off
	s_waitcnt vmcnt(0)
	global_atomic_cmpswap_x2 v[4:5], v28, v[12:15], s[2:3] offset:32 glc
	s_waitcnt vmcnt(0)
	v_cmp_ne_u64_e32 vcc, v[4:5], v[14:15]
	s_and_saveexec_b64 s[14:15], vcc
	s_cbranch_execz .LBB16_144
; %bb.142:                              ;   in Loop: Header=BB16_76 Depth=1
	s_mov_b64 s[16:17], 0
.LBB16_143:                             ;   Parent Loop BB16_76 Depth=1
                                        ; =>  This Inner Loop Header: Depth=2
	s_sleep 1
	global_store_dwordx2 v[6:7], v[4:5], off
	v_mov_b32_e32 v2, s10
	v_mov_b32_e32 v3, s11
	s_waitcnt vmcnt(0)
	global_atomic_cmpswap_x2 v[2:3], v28, v[2:5], s[2:3] offset:32 glc
	s_waitcnt vmcnt(0)
	v_cmp_eq_u64_e32 vcc, v[2:3], v[4:5]
	v_mov_b32_e32 v5, v3
	s_or_b64 s[16:17], vcc, s[16:17]
	v_mov_b32_e32 v4, v2
	s_andn2_b64 exec, exec, s[16:17]
	s_cbranch_execnz .LBB16_143
.LBB16_144:                             ;   in Loop: Header=BB16_76 Depth=1
	s_or_b64 exec, exec, s[14:15]
	global_load_dwordx2 v[2:3], v28, s[2:3] offset:16
	s_mov_b64 s[16:17], exec
	v_mbcnt_lo_u32_b32 v4, s16, 0
	v_mbcnt_hi_u32_b32 v4, s17, v4
	v_cmp_eq_u32_e32 vcc, 0, v4
	s_and_saveexec_b64 s[14:15], vcc
	s_cbranch_execz .LBB16_146
; %bb.145:                              ;   in Loop: Header=BB16_76 Depth=1
	s_bcnt1_i32_b64 s16, s[16:17]
	v_mov_b32_e32 v27, s16
	s_waitcnt vmcnt(0)
	global_atomic_add_x2 v[2:3], v[27:28], off offset:8
.LBB16_146:                             ;   in Loop: Header=BB16_76 Depth=1
	s_or_b64 exec, exec, s[14:15]
	s_waitcnt vmcnt(0)
	global_load_dwordx2 v[4:5], v[2:3], off offset:16
	s_waitcnt vmcnt(0)
	v_cmp_eq_u64_e32 vcc, 0, v[4:5]
	s_cbranch_vccnz .LBB16_148
; %bb.147:                              ;   in Loop: Header=BB16_76 Depth=1
	global_load_dword v27, v[2:3], off offset:24
	s_waitcnt vmcnt(0)
	v_readfirstlane_b32 s14, v27
	s_and_b32 m0, s14, 0xffffff
	global_store_dwordx2 v[4:5], v[27:28], off
	s_sendmsg sendmsg(MSG_INTERRUPT)
.LBB16_148:                             ;   in Loop: Header=BB16_76 Depth=1
	s_or_b64 exec, exec, s[12:13]
	v_add_co_u32_e32 v2, vcc, v8, v31
	v_addc_co_u32_e32 v3, vcc, 0, v9, vcc
	s_branch .LBB16_152
.LBB16_149:                             ;   in Loop: Header=BB16_152 Depth=2
	s_or_b64 exec, exec, s[12:13]
	v_readfirstlane_b32 s12, v4
	s_cmp_eq_u32 s12, 0
	s_cbranch_scc1 .LBB16_151
; %bb.150:                              ;   in Loop: Header=BB16_152 Depth=2
	s_sleep 1
	s_cbranch_execnz .LBB16_152
	s_branch .LBB16_154
.LBB16_151:                             ;   in Loop: Header=BB16_76 Depth=1
	s_branch .LBB16_154
.LBB16_152:                             ;   Parent Loop BB16_76 Depth=1
                                        ; =>  This Inner Loop Header: Depth=2
	v_mov_b32_e32 v4, 1
	s_and_saveexec_b64 s[12:13], s[0:1]
	s_cbranch_execz .LBB16_149
; %bb.153:                              ;   in Loop: Header=BB16_152 Depth=2
	global_load_dword v4, v[29:30], off offset:20 glc
	s_waitcnt vmcnt(0)
	buffer_wbinvl1_vol
	v_and_b32_e32 v4, 1, v4
	s_branch .LBB16_149
.LBB16_154:                             ;   in Loop: Header=BB16_76 Depth=1
	global_load_dwordx2 v[4:5], v[2:3], off
	s_and_saveexec_b64 s[12:13], s[0:1]
	s_cbranch_execz .LBB16_75
; %bb.155:                              ;   in Loop: Header=BB16_76 Depth=1
	global_load_dwordx2 v[2:3], v28, s[2:3] offset:40
	global_load_dwordx2 v[14:15], v28, s[2:3] offset:24 glc
	global_load_dwordx2 v[6:7], v28, s[2:3]
	s_waitcnt vmcnt(2)
	v_readfirstlane_b32 s14, v2
	v_readfirstlane_b32 s15, v3
	s_add_u32 s16, s14, 1
	s_addc_u32 s17, s15, 0
	s_add_u32 s0, s16, s10
	s_addc_u32 s1, s17, s11
	s_cmp_eq_u64 s[0:1], 0
	s_cselect_b32 s1, s17, s1
	s_cselect_b32 s0, s16, s0
	s_and_b64 s[10:11], s[0:1], s[14:15]
	s_mul_i32 s11, s11, 24
	s_mul_hi_u32 s14, s10, 24
	s_mul_i32 s10, s10, 24
	s_add_i32 s11, s14, s11
	v_mov_b32_e32 v3, s11
	s_waitcnt vmcnt(0)
	v_add_co_u32_e32 v2, vcc, s10, v6
	v_addc_co_u32_e32 v3, vcc, v7, v3, vcc
	v_mov_b32_e32 v12, s0
	global_store_dwordx2 v[2:3], v[14:15], off
	v_mov_b32_e32 v13, s1
	s_waitcnt vmcnt(0)
	global_atomic_cmpswap_x2 v[8:9], v28, v[12:15], s[2:3] offset:24 glc
	s_waitcnt vmcnt(0)
	v_cmp_ne_u64_e32 vcc, v[8:9], v[14:15]
	s_and_b64 exec, exec, vcc
	s_cbranch_execz .LBB16_75
; %bb.156:                              ;   in Loop: Header=BB16_76 Depth=1
	s_mov_b64 s[10:11], 0
.LBB16_157:                             ;   Parent Loop BB16_76 Depth=1
                                        ; =>  This Inner Loop Header: Depth=2
	s_sleep 1
	global_store_dwordx2 v[2:3], v[8:9], off
	v_mov_b32_e32 v6, s0
	v_mov_b32_e32 v7, s1
	s_waitcnt vmcnt(0)
	global_atomic_cmpswap_x2 v[6:7], v28, v[6:9], s[2:3] offset:24 glc
	s_waitcnt vmcnt(0)
	v_cmp_eq_u64_e32 vcc, v[6:7], v[8:9]
	v_mov_b32_e32 v9, v7
	s_or_b64 s[10:11], vcc, s[10:11]
	v_mov_b32_e32 v8, v6
	s_andn2_b64 exec, exec, s[10:11]
	s_cbranch_execnz .LBB16_157
	s_branch .LBB16_75
.LBB16_158:
	s_mov_b64 s[0:1], -1
                                        ; implicit-def: $vgpr4_vgpr5
	s_branch .LBB16_160
.LBB16_159:
	s_mov_b64 s[0:1], 0
.LBB16_160:
	s_and_b64 vcc, exec, s[0:1]
	s_cbranch_vccz .LBB16_187
; %bb.161:
	v_readfirstlane_b32 s0, v32
	v_mov_b32_e32 v8, 0
	v_mov_b32_e32 v9, 0
	v_cmp_eq_u32_e64 s[0:1], s0, v32
	s_and_saveexec_b64 s[4:5], s[0:1]
	s_cbranch_execz .LBB16_167
; %bb.162:
	v_mov_b32_e32 v2, 0
	global_load_dwordx2 v[5:6], v2, s[2:3] offset:24 glc
	s_waitcnt vmcnt(0)
	buffer_wbinvl1_vol
	global_load_dwordx2 v[3:4], v2, s[2:3] offset:40
	global_load_dwordx2 v[7:8], v2, s[2:3]
	s_waitcnt vmcnt(1)
	v_and_b32_e32 v3, v3, v5
	v_and_b32_e32 v4, v4, v6
	v_mul_lo_u32 v4, v4, 24
	v_mul_hi_u32 v9, v3, 24
	v_mul_lo_u32 v3, v3, 24
	v_add_u32_e32 v4, v9, v4
	s_waitcnt vmcnt(0)
	v_add_co_u32_e32 v3, vcc, v7, v3
	v_addc_co_u32_e32 v4, vcc, v8, v4, vcc
	global_load_dwordx2 v[3:4], v[3:4], off glc
	s_waitcnt vmcnt(0)
	global_atomic_cmpswap_x2 v[8:9], v2, v[3:6], s[2:3] offset:24 glc
	s_waitcnt vmcnt(0)
	buffer_wbinvl1_vol
	v_cmp_ne_u64_e32 vcc, v[8:9], v[5:6]
	s_and_saveexec_b64 s[6:7], vcc
	s_cbranch_execz .LBB16_166
; %bb.163:
	s_mov_b64 s[8:9], 0
.LBB16_164:                             ; =>This Inner Loop Header: Depth=1
	s_sleep 1
	global_load_dwordx2 v[3:4], v2, s[2:3] offset:40
	global_load_dwordx2 v[10:11], v2, s[2:3]
	v_mov_b32_e32 v5, v8
	v_mov_b32_e32 v6, v9
	s_waitcnt vmcnt(1)
	v_and_b32_e32 v3, v3, v5
	s_waitcnt vmcnt(0)
	v_mad_u64_u32 v[7:8], s[10:11], v3, 24, v[10:11]
	v_and_b32_e32 v4, v4, v6
	v_mov_b32_e32 v3, v8
	v_mad_u64_u32 v[3:4], s[10:11], v4, 24, v[3:4]
	v_mov_b32_e32 v8, v3
	global_load_dwordx2 v[3:4], v[7:8], off glc
	s_waitcnt vmcnt(0)
	global_atomic_cmpswap_x2 v[8:9], v2, v[3:6], s[2:3] offset:24 glc
	s_waitcnt vmcnt(0)
	buffer_wbinvl1_vol
	v_cmp_eq_u64_e32 vcc, v[8:9], v[5:6]
	s_or_b64 s[8:9], vcc, s[8:9]
	s_andn2_b64 exec, exec, s[8:9]
	s_cbranch_execnz .LBB16_164
; %bb.165:
	s_or_b64 exec, exec, s[8:9]
.LBB16_166:
	s_or_b64 exec, exec, s[6:7]
.LBB16_167:
	s_or_b64 exec, exec, s[4:5]
	v_mov_b32_e32 v2, 0
	global_load_dwordx2 v[10:11], v2, s[2:3] offset:40
	global_load_dwordx4 v[4:7], v2, s[2:3]
	v_readfirstlane_b32 s5, v9
	v_readfirstlane_b32 s4, v8
	s_mov_b64 s[6:7], exec
	s_waitcnt vmcnt(1)
	v_readfirstlane_b32 s8, v10
	v_readfirstlane_b32 s9, v11
	s_and_b64 s[8:9], s[8:9], s[4:5]
	s_mul_i32 s10, s9, 24
	s_mul_hi_u32 s11, s8, 24
	s_mul_i32 s12, s8, 24
	s_add_i32 s10, s11, s10
	v_mov_b32_e32 v3, s10
	s_waitcnt vmcnt(0)
	v_add_co_u32_e32 v8, vcc, s12, v4
	v_addc_co_u32_e32 v9, vcc, v5, v3, vcc
	s_and_saveexec_b64 s[10:11], s[0:1]
	s_cbranch_execz .LBB16_169
; %bb.168:
	v_mov_b32_e32 v11, s7
	v_mov_b32_e32 v10, s6
	;; [unrolled: 1-line block ×4, first 2 shown]
	global_store_dwordx4 v[8:9], v[10:13], off offset:8
.LBB16_169:
	s_or_b64 exec, exec, s[10:11]
	s_lshl_b64 s[6:7], s[8:9], 12
	v_mov_b32_e32 v3, s7
	v_add_co_u32_e32 v10, vcc, s6, v6
	v_addc_co_u32_e32 v11, vcc, v7, v3, vcc
	s_movk_i32 s6, 0xff1f
	v_and_or_b32 v0, v0, s6, 32
	s_mov_b32 s8, 0
	v_mov_b32_e32 v3, v2
	v_readfirstlane_b32 s6, v10
	v_readfirstlane_b32 s7, v11
	v_add_co_u32_e32 v6, vcc, v10, v31
	s_mov_b32 s9, s8
	s_mov_b32 s10, s8
	;; [unrolled: 1-line block ×3, first 2 shown]
	s_nop 0
	global_store_dwordx4 v31, v[0:3], s[6:7]
	v_addc_co_u32_e32 v7, vcc, 0, v11, vcc
	v_mov_b32_e32 v0, s8
	v_mov_b32_e32 v1, s9
	;; [unrolled: 1-line block ×4, first 2 shown]
	global_store_dwordx4 v31, v[0:3], s[6:7] offset:16
	global_store_dwordx4 v31, v[0:3], s[6:7] offset:32
	;; [unrolled: 1-line block ×3, first 2 shown]
	s_and_saveexec_b64 s[6:7], s[0:1]
	s_cbranch_execz .LBB16_177
; %bb.170:
	v_mov_b32_e32 v10, 0
	global_load_dwordx2 v[13:14], v10, s[2:3] offset:32 glc
	global_load_dwordx2 v[0:1], v10, s[2:3] offset:40
	v_mov_b32_e32 v11, s4
	v_mov_b32_e32 v12, s5
	s_waitcnt vmcnt(0)
	v_readfirstlane_b32 s8, v0
	v_readfirstlane_b32 s9, v1
	s_and_b64 s[8:9], s[8:9], s[4:5]
	s_mul_i32 s9, s9, 24
	s_mul_hi_u32 s10, s8, 24
	s_mul_i32 s8, s8, 24
	s_add_i32 s9, s10, s9
	v_mov_b32_e32 v0, s9
	v_add_co_u32_e32 v4, vcc, s8, v4
	v_addc_co_u32_e32 v5, vcc, v5, v0, vcc
	global_store_dwordx2 v[4:5], v[13:14], off
	s_waitcnt vmcnt(0)
	global_atomic_cmpswap_x2 v[2:3], v10, v[11:14], s[2:3] offset:32 glc
	s_waitcnt vmcnt(0)
	v_cmp_ne_u64_e32 vcc, v[2:3], v[13:14]
	s_and_saveexec_b64 s[8:9], vcc
	s_cbranch_execz .LBB16_173
; %bb.171:
	s_mov_b64 s[10:11], 0
.LBB16_172:                             ; =>This Inner Loop Header: Depth=1
	s_sleep 1
	global_store_dwordx2 v[4:5], v[2:3], off
	v_mov_b32_e32 v0, s4
	v_mov_b32_e32 v1, s5
	s_waitcnt vmcnt(0)
	global_atomic_cmpswap_x2 v[0:1], v10, v[0:3], s[2:3] offset:32 glc
	s_waitcnt vmcnt(0)
	v_cmp_eq_u64_e32 vcc, v[0:1], v[2:3]
	v_mov_b32_e32 v3, v1
	s_or_b64 s[10:11], vcc, s[10:11]
	v_mov_b32_e32 v2, v0
	s_andn2_b64 exec, exec, s[10:11]
	s_cbranch_execnz .LBB16_172
.LBB16_173:
	s_or_b64 exec, exec, s[8:9]
	v_mov_b32_e32 v3, 0
	global_load_dwordx2 v[0:1], v3, s[2:3] offset:16
	s_mov_b64 s[8:9], exec
	v_mbcnt_lo_u32_b32 v2, s8, 0
	v_mbcnt_hi_u32_b32 v2, s9, v2
	v_cmp_eq_u32_e32 vcc, 0, v2
	s_and_saveexec_b64 s[10:11], vcc
	s_cbranch_execz .LBB16_175
; %bb.174:
	s_bcnt1_i32_b64 s8, s[8:9]
	v_mov_b32_e32 v2, s8
	s_waitcnt vmcnt(0)
	global_atomic_add_x2 v[0:1], v[2:3], off offset:8
.LBB16_175:
	s_or_b64 exec, exec, s[10:11]
	s_waitcnt vmcnt(0)
	global_load_dwordx2 v[2:3], v[0:1], off offset:16
	s_waitcnt vmcnt(0)
	v_cmp_eq_u64_e32 vcc, 0, v[2:3]
	s_cbranch_vccnz .LBB16_177
; %bb.176:
	global_load_dword v0, v[0:1], off offset:24
	v_mov_b32_e32 v1, 0
	s_waitcnt vmcnt(0)
	v_readfirstlane_b32 s8, v0
	s_and_b32 m0, s8, 0xffffff
	global_store_dwordx2 v[2:3], v[0:1], off
	s_sendmsg sendmsg(MSG_INTERRUPT)
.LBB16_177:
	s_or_b64 exec, exec, s[6:7]
	s_branch .LBB16_181
.LBB16_178:                             ;   in Loop: Header=BB16_181 Depth=1
	s_or_b64 exec, exec, s[6:7]
	v_readfirstlane_b32 s6, v0
	s_cmp_eq_u32 s6, 0
	s_cbranch_scc1 .LBB16_180
; %bb.179:                              ;   in Loop: Header=BB16_181 Depth=1
	s_sleep 1
	s_cbranch_execnz .LBB16_181
	s_branch .LBB16_183
.LBB16_180:
	s_branch .LBB16_183
.LBB16_181:                             ; =>This Inner Loop Header: Depth=1
	v_mov_b32_e32 v0, 1
	s_and_saveexec_b64 s[6:7], s[0:1]
	s_cbranch_execz .LBB16_178
; %bb.182:                              ;   in Loop: Header=BB16_181 Depth=1
	global_load_dword v0, v[8:9], off offset:20 glc
	s_waitcnt vmcnt(0)
	buffer_wbinvl1_vol
	v_and_b32_e32 v0, 1, v0
	s_branch .LBB16_178
.LBB16_183:
	global_load_dwordx2 v[4:5], v[6:7], off
	s_and_saveexec_b64 s[6:7], s[0:1]
	s_cbranch_execz .LBB16_186
; %bb.184:
	v_mov_b32_e32 v8, 0
	global_load_dwordx2 v[0:1], v8, s[2:3] offset:40
	global_load_dwordx2 v[11:12], v8, s[2:3] offset:24 glc
	global_load_dwordx2 v[2:3], v8, s[2:3]
	s_waitcnt vmcnt(2)
	v_readfirstlane_b32 s8, v0
	v_readfirstlane_b32 s9, v1
	s_add_u32 s10, s8, 1
	s_addc_u32 s11, s9, 0
	s_add_u32 s0, s10, s4
	s_addc_u32 s1, s11, s5
	s_cmp_eq_u64 s[0:1], 0
	s_cselect_b32 s1, s11, s1
	s_cselect_b32 s0, s10, s0
	s_and_b64 s[4:5], s[0:1], s[8:9]
	s_mul_i32 s5, s5, 24
	s_mul_hi_u32 s8, s4, 24
	s_mul_i32 s4, s4, 24
	s_add_i32 s5, s8, s5
	v_mov_b32_e32 v0, s5
	s_waitcnt vmcnt(0)
	v_add_co_u32_e32 v6, vcc, s4, v2
	v_addc_co_u32_e32 v7, vcc, v3, v0, vcc
	v_mov_b32_e32 v9, s0
	global_store_dwordx2 v[6:7], v[11:12], off
	v_mov_b32_e32 v10, s1
	s_waitcnt vmcnt(0)
	global_atomic_cmpswap_x2 v[2:3], v8, v[9:12], s[2:3] offset:24 glc
	s_mov_b64 s[4:5], 0
	s_waitcnt vmcnt(0)
	v_cmp_ne_u64_e32 vcc, v[2:3], v[11:12]
	s_and_b64 exec, exec, vcc
	s_cbranch_execz .LBB16_186
.LBB16_185:                             ; =>This Inner Loop Header: Depth=1
	s_sleep 1
	global_store_dwordx2 v[6:7], v[2:3], off
	v_mov_b32_e32 v0, s0
	v_mov_b32_e32 v1, s1
	s_waitcnt vmcnt(0)
	global_atomic_cmpswap_x2 v[0:1], v8, v[0:3], s[2:3] offset:24 glc
	s_waitcnt vmcnt(0)
	v_cmp_eq_u64_e32 vcc, v[0:1], v[2:3]
	v_mov_b32_e32 v3, v1
	s_or_b64 s[4:5], vcc, s[4:5]
	v_mov_b32_e32 v2, v0
	s_andn2_b64 exec, exec, s[4:5]
	s_cbranch_execnz .LBB16_185
.LBB16_186:
	s_or_b64 exec, exec, s[6:7]
.LBB16_187:
	s_getpc_b64 s[4:5]
	s_add_u32 s4, s4, .str.1@rel32@lo+4
	s_addc_u32 s5, s5, .str.1@rel32@hi+12
	s_cmp_lg_u64 s[4:5], 0
	s_cbranch_scc0 .LBB16_272
; %bb.188:
	s_waitcnt vmcnt(0)
	v_and_b32_e32 v29, 2, v4
	v_mov_b32_e32 v26, 0
	v_and_b32_e32 v0, -3, v4
	v_mov_b32_e32 v1, v5
	s_mov_b64 s[6:7], 0x61
	v_mov_b32_e32 v8, 2
	v_mov_b32_e32 v9, 1
	s_branch .LBB16_190
.LBB16_189:                             ;   in Loop: Header=BB16_190 Depth=1
	s_or_b64 exec, exec, s[12:13]
	s_sub_u32 s6, s6, s8
	s_subb_u32 s7, s7, s9
	s_add_u32 s4, s4, s8
	s_addc_u32 s5, s5, s9
	s_cmp_lg_u64 s[6:7], 0
	s_cbranch_scc0 .LBB16_273
.LBB16_190:                             ; =>This Loop Header: Depth=1
                                        ;     Child Loop BB16_193 Depth 2
                                        ;     Child Loop BB16_201 Depth 2
                                        ;     Child Loop BB16_209 Depth 2
                                        ;     Child Loop BB16_217 Depth 2
                                        ;     Child Loop BB16_225 Depth 2
                                        ;     Child Loop BB16_233 Depth 2
                                        ;     Child Loop BB16_241 Depth 2
                                        ;     Child Loop BB16_249 Depth 2
                                        ;     Child Loop BB16_257 Depth 2
                                        ;     Child Loop BB16_266 Depth 2
                                        ;     Child Loop BB16_271 Depth 2
	v_cmp_lt_u64_e64 s[0:1], s[6:7], 56
	v_cmp_gt_u64_e64 s[10:11], s[6:7], 7
	s_and_b64 s[0:1], s[0:1], exec
	s_cselect_b32 s9, s7, 0
	s_cselect_b32 s8, s6, 56
	s_add_u32 s0, s4, 8
	s_addc_u32 s1, s5, 0
	s_and_b64 vcc, exec, s[10:11]
	s_cbranch_vccnz .LBB16_194
; %bb.191:                              ;   in Loop: Header=BB16_190 Depth=1
	s_cmp_eq_u64 s[6:7], 0
	s_cbranch_scc1 .LBB16_195
; %bb.192:                              ;   in Loop: Header=BB16_190 Depth=1
	v_mov_b32_e32 v2, 0
	s_lshl_b64 s[0:1], s[8:9], 3
	s_mov_b64 s[10:11], 0
	v_mov_b32_e32 v3, 0
	s_mov_b64 s[12:13], s[4:5]
.LBB16_193:                             ;   Parent Loop BB16_190 Depth=1
                                        ; =>  This Inner Loop Header: Depth=2
	global_load_ubyte v6, v26, s[12:13]
	s_waitcnt vmcnt(0)
	v_and_b32_e32 v25, 0xffff, v6
	v_lshlrev_b64 v[6:7], s10, v[25:26]
	s_add_u32 s10, s10, 8
	s_addc_u32 s11, s11, 0
	s_add_u32 s12, s12, 1
	s_addc_u32 s13, s13, 0
	v_or_b32_e32 v2, v6, v2
	s_cmp_lg_u32 s0, s10
	v_or_b32_e32 v3, v7, v3
	s_cbranch_scc1 .LBB16_193
	s_branch .LBB16_196
.LBB16_194:                             ;   in Loop: Header=BB16_190 Depth=1
	s_mov_b32 s14, 0
	s_branch .LBB16_197
.LBB16_195:                             ;   in Loop: Header=BB16_190 Depth=1
	v_mov_b32_e32 v2, 0
	v_mov_b32_e32 v3, 0
.LBB16_196:                             ;   in Loop: Header=BB16_190 Depth=1
	s_mov_b64 s[0:1], s[4:5]
	s_mov_b32 s14, 0
	s_cbranch_execnz .LBB16_198
.LBB16_197:                             ;   in Loop: Header=BB16_190 Depth=1
	global_load_dwordx2 v[2:3], v26, s[4:5]
	s_add_i32 s14, s8, -8
.LBB16_198:                             ;   in Loop: Header=BB16_190 Depth=1
	s_add_u32 s10, s0, 8
	s_addc_u32 s11, s1, 0
	s_cmp_gt_u32 s14, 7
	s_cbranch_scc1 .LBB16_202
; %bb.199:                              ;   in Loop: Header=BB16_190 Depth=1
	s_cmp_eq_u32 s14, 0
	s_cbranch_scc1 .LBB16_203
; %bb.200:                              ;   in Loop: Header=BB16_190 Depth=1
	v_mov_b32_e32 v10, 0
	s_mov_b64 s[10:11], 0
	v_mov_b32_e32 v11, 0
	s_mov_b64 s[12:13], 0
.LBB16_201:                             ;   Parent Loop BB16_190 Depth=1
                                        ; =>  This Inner Loop Header: Depth=2
	s_add_u32 s16, s0, s12
	s_addc_u32 s17, s1, s13
	global_load_ubyte v6, v26, s[16:17]
	s_add_u32 s12, s12, 1
	s_addc_u32 s13, s13, 0
	s_waitcnt vmcnt(0)
	v_and_b32_e32 v25, 0xffff, v6
	v_lshlrev_b64 v[6:7], s10, v[25:26]
	s_add_u32 s10, s10, 8
	s_addc_u32 s11, s11, 0
	v_or_b32_e32 v10, v6, v10
	s_cmp_lg_u32 s14, s12
	v_or_b32_e32 v11, v7, v11
	s_cbranch_scc1 .LBB16_201
	s_branch .LBB16_204
.LBB16_202:                             ;   in Loop: Header=BB16_190 Depth=1
                                        ; implicit-def: $vgpr10_vgpr11
	s_mov_b32 s15, 0
	s_branch .LBB16_205
.LBB16_203:                             ;   in Loop: Header=BB16_190 Depth=1
	v_mov_b32_e32 v10, 0
	v_mov_b32_e32 v11, 0
.LBB16_204:                             ;   in Loop: Header=BB16_190 Depth=1
	s_mov_b64 s[10:11], s[0:1]
	s_mov_b32 s15, 0
	s_cbranch_execnz .LBB16_206
.LBB16_205:                             ;   in Loop: Header=BB16_190 Depth=1
	global_load_dwordx2 v[10:11], v26, s[0:1]
	s_add_i32 s15, s14, -8
.LBB16_206:                             ;   in Loop: Header=BB16_190 Depth=1
	s_add_u32 s0, s10, 8
	s_addc_u32 s1, s11, 0
	s_cmp_gt_u32 s15, 7
	s_cbranch_scc1 .LBB16_210
; %bb.207:                              ;   in Loop: Header=BB16_190 Depth=1
	s_cmp_eq_u32 s15, 0
	s_cbranch_scc1 .LBB16_211
; %bb.208:                              ;   in Loop: Header=BB16_190 Depth=1
	v_mov_b32_e32 v12, 0
	s_mov_b64 s[0:1], 0
	v_mov_b32_e32 v13, 0
	s_mov_b64 s[12:13], 0
.LBB16_209:                             ;   Parent Loop BB16_190 Depth=1
                                        ; =>  This Inner Loop Header: Depth=2
	s_add_u32 s16, s10, s12
	s_addc_u32 s17, s11, s13
	global_load_ubyte v6, v26, s[16:17]
	s_add_u32 s12, s12, 1
	s_addc_u32 s13, s13, 0
	s_waitcnt vmcnt(0)
	v_and_b32_e32 v25, 0xffff, v6
	v_lshlrev_b64 v[6:7], s0, v[25:26]
	s_add_u32 s0, s0, 8
	s_addc_u32 s1, s1, 0
	v_or_b32_e32 v12, v6, v12
	s_cmp_lg_u32 s15, s12
	v_or_b32_e32 v13, v7, v13
	s_cbranch_scc1 .LBB16_209
	s_branch .LBB16_212
.LBB16_210:                             ;   in Loop: Header=BB16_190 Depth=1
	s_mov_b32 s14, 0
	s_branch .LBB16_213
.LBB16_211:                             ;   in Loop: Header=BB16_190 Depth=1
	v_mov_b32_e32 v12, 0
	v_mov_b32_e32 v13, 0
.LBB16_212:                             ;   in Loop: Header=BB16_190 Depth=1
	s_mov_b64 s[0:1], s[10:11]
	s_mov_b32 s14, 0
	s_cbranch_execnz .LBB16_214
.LBB16_213:                             ;   in Loop: Header=BB16_190 Depth=1
	global_load_dwordx2 v[12:13], v26, s[10:11]
	s_add_i32 s14, s15, -8
.LBB16_214:                             ;   in Loop: Header=BB16_190 Depth=1
	s_add_u32 s10, s0, 8
	s_addc_u32 s11, s1, 0
	s_cmp_gt_u32 s14, 7
	s_cbranch_scc1 .LBB16_218
; %bb.215:                              ;   in Loop: Header=BB16_190 Depth=1
	s_cmp_eq_u32 s14, 0
	s_cbranch_scc1 .LBB16_219
; %bb.216:                              ;   in Loop: Header=BB16_190 Depth=1
	v_mov_b32_e32 v14, 0
	s_mov_b64 s[10:11], 0
	v_mov_b32_e32 v15, 0
	s_mov_b64 s[12:13], 0
.LBB16_217:                             ;   Parent Loop BB16_190 Depth=1
                                        ; =>  This Inner Loop Header: Depth=2
	s_add_u32 s16, s0, s12
	s_addc_u32 s17, s1, s13
	global_load_ubyte v6, v26, s[16:17]
	s_add_u32 s12, s12, 1
	s_addc_u32 s13, s13, 0
	s_waitcnt vmcnt(0)
	v_and_b32_e32 v25, 0xffff, v6
	v_lshlrev_b64 v[6:7], s10, v[25:26]
	s_add_u32 s10, s10, 8
	s_addc_u32 s11, s11, 0
	v_or_b32_e32 v14, v6, v14
	s_cmp_lg_u32 s14, s12
	v_or_b32_e32 v15, v7, v15
	s_cbranch_scc1 .LBB16_217
	s_branch .LBB16_220
.LBB16_218:                             ;   in Loop: Header=BB16_190 Depth=1
                                        ; implicit-def: $vgpr14_vgpr15
	s_mov_b32 s15, 0
	s_branch .LBB16_221
.LBB16_219:                             ;   in Loop: Header=BB16_190 Depth=1
	v_mov_b32_e32 v14, 0
	v_mov_b32_e32 v15, 0
.LBB16_220:                             ;   in Loop: Header=BB16_190 Depth=1
	s_mov_b64 s[10:11], s[0:1]
	s_mov_b32 s15, 0
	s_cbranch_execnz .LBB16_222
.LBB16_221:                             ;   in Loop: Header=BB16_190 Depth=1
	global_load_dwordx2 v[14:15], v26, s[0:1]
	s_add_i32 s15, s14, -8
.LBB16_222:                             ;   in Loop: Header=BB16_190 Depth=1
	s_add_u32 s0, s10, 8
	s_addc_u32 s1, s11, 0
	s_cmp_gt_u32 s15, 7
	s_cbranch_scc1 .LBB16_226
; %bb.223:                              ;   in Loop: Header=BB16_190 Depth=1
	s_cmp_eq_u32 s15, 0
	s_cbranch_scc1 .LBB16_227
; %bb.224:                              ;   in Loop: Header=BB16_190 Depth=1
	v_mov_b32_e32 v16, 0
	s_mov_b64 s[0:1], 0
	v_mov_b32_e32 v17, 0
	s_mov_b64 s[12:13], 0
.LBB16_225:                             ;   Parent Loop BB16_190 Depth=1
                                        ; =>  This Inner Loop Header: Depth=2
	s_add_u32 s16, s10, s12
	s_addc_u32 s17, s11, s13
	global_load_ubyte v6, v26, s[16:17]
	s_add_u32 s12, s12, 1
	s_addc_u32 s13, s13, 0
	s_waitcnt vmcnt(0)
	v_and_b32_e32 v25, 0xffff, v6
	v_lshlrev_b64 v[6:7], s0, v[25:26]
	s_add_u32 s0, s0, 8
	s_addc_u32 s1, s1, 0
	v_or_b32_e32 v16, v6, v16
	s_cmp_lg_u32 s15, s12
	v_or_b32_e32 v17, v7, v17
	s_cbranch_scc1 .LBB16_225
	s_branch .LBB16_228
.LBB16_226:                             ;   in Loop: Header=BB16_190 Depth=1
	s_mov_b32 s14, 0
	s_branch .LBB16_229
.LBB16_227:                             ;   in Loop: Header=BB16_190 Depth=1
	v_mov_b32_e32 v16, 0
	v_mov_b32_e32 v17, 0
.LBB16_228:                             ;   in Loop: Header=BB16_190 Depth=1
	s_mov_b64 s[0:1], s[10:11]
	s_mov_b32 s14, 0
	s_cbranch_execnz .LBB16_230
.LBB16_229:                             ;   in Loop: Header=BB16_190 Depth=1
	global_load_dwordx2 v[16:17], v26, s[10:11]
	s_add_i32 s14, s15, -8
.LBB16_230:                             ;   in Loop: Header=BB16_190 Depth=1
	s_add_u32 s10, s0, 8
	s_addc_u32 s11, s1, 0
	s_cmp_gt_u32 s14, 7
	s_cbranch_scc1 .LBB16_234
; %bb.231:                              ;   in Loop: Header=BB16_190 Depth=1
	s_cmp_eq_u32 s14, 0
	s_cbranch_scc1 .LBB16_235
; %bb.232:                              ;   in Loop: Header=BB16_190 Depth=1
	v_mov_b32_e32 v18, 0
	s_mov_b64 s[10:11], 0
	v_mov_b32_e32 v19, 0
	s_mov_b64 s[12:13], 0
.LBB16_233:                             ;   Parent Loop BB16_190 Depth=1
                                        ; =>  This Inner Loop Header: Depth=2
	s_add_u32 s16, s0, s12
	s_addc_u32 s17, s1, s13
	global_load_ubyte v6, v26, s[16:17]
	s_add_u32 s12, s12, 1
	s_addc_u32 s13, s13, 0
	s_waitcnt vmcnt(0)
	v_and_b32_e32 v25, 0xffff, v6
	v_lshlrev_b64 v[6:7], s10, v[25:26]
	s_add_u32 s10, s10, 8
	s_addc_u32 s11, s11, 0
	v_or_b32_e32 v18, v6, v18
	s_cmp_lg_u32 s14, s12
	v_or_b32_e32 v19, v7, v19
	s_cbranch_scc1 .LBB16_233
	s_branch .LBB16_236
.LBB16_234:                             ;   in Loop: Header=BB16_190 Depth=1
                                        ; implicit-def: $vgpr18_vgpr19
	s_mov_b32 s15, 0
	s_branch .LBB16_237
.LBB16_235:                             ;   in Loop: Header=BB16_190 Depth=1
	v_mov_b32_e32 v18, 0
	v_mov_b32_e32 v19, 0
.LBB16_236:                             ;   in Loop: Header=BB16_190 Depth=1
	s_mov_b64 s[10:11], s[0:1]
	s_mov_b32 s15, 0
	s_cbranch_execnz .LBB16_238
.LBB16_237:                             ;   in Loop: Header=BB16_190 Depth=1
	global_load_dwordx2 v[18:19], v26, s[0:1]
	s_add_i32 s15, s14, -8
.LBB16_238:                             ;   in Loop: Header=BB16_190 Depth=1
	s_cmp_gt_u32 s15, 7
	s_cbranch_scc1 .LBB16_242
; %bb.239:                              ;   in Loop: Header=BB16_190 Depth=1
	s_cmp_eq_u32 s15, 0
	s_cbranch_scc1 .LBB16_243
; %bb.240:                              ;   in Loop: Header=BB16_190 Depth=1
	v_mov_b32_e32 v20, 0
	s_mov_b64 s[0:1], 0
	v_mov_b32_e32 v21, 0
	s_mov_b64 s[12:13], s[10:11]
.LBB16_241:                             ;   Parent Loop BB16_190 Depth=1
                                        ; =>  This Inner Loop Header: Depth=2
	global_load_ubyte v6, v26, s[12:13]
	s_add_i32 s15, s15, -1
	s_waitcnt vmcnt(0)
	v_and_b32_e32 v25, 0xffff, v6
	v_lshlrev_b64 v[6:7], s0, v[25:26]
	s_add_u32 s0, s0, 8
	s_addc_u32 s1, s1, 0
	s_add_u32 s12, s12, 1
	s_addc_u32 s13, s13, 0
	v_or_b32_e32 v20, v6, v20
	s_cmp_lg_u32 s15, 0
	v_or_b32_e32 v21, v7, v21
	s_cbranch_scc1 .LBB16_241
	s_branch .LBB16_244
.LBB16_242:                             ;   in Loop: Header=BB16_190 Depth=1
	s_branch .LBB16_245
.LBB16_243:                             ;   in Loop: Header=BB16_190 Depth=1
	v_mov_b32_e32 v20, 0
	v_mov_b32_e32 v21, 0
.LBB16_244:                             ;   in Loop: Header=BB16_190 Depth=1
	s_cbranch_execnz .LBB16_246
.LBB16_245:                             ;   in Loop: Header=BB16_190 Depth=1
	global_load_dwordx2 v[20:21], v26, s[10:11]
.LBB16_246:                             ;   in Loop: Header=BB16_190 Depth=1
	v_readfirstlane_b32 s0, v32
	v_mov_b32_e32 v6, 0
	v_mov_b32_e32 v7, 0
	v_cmp_eq_u32_e64 s[0:1], s0, v32
	s_and_saveexec_b64 s[10:11], s[0:1]
	s_cbranch_execz .LBB16_252
; %bb.247:                              ;   in Loop: Header=BB16_190 Depth=1
	global_load_dwordx2 v[24:25], v26, s[2:3] offset:24 glc
	s_waitcnt vmcnt(0)
	buffer_wbinvl1_vol
	global_load_dwordx2 v[6:7], v26, s[2:3] offset:40
	global_load_dwordx2 v[22:23], v26, s[2:3]
	s_waitcnt vmcnt(1)
	v_and_b32_e32 v6, v6, v24
	v_and_b32_e32 v7, v7, v25
	v_mul_lo_u32 v7, v7, 24
	v_mul_hi_u32 v27, v6, 24
	v_mul_lo_u32 v6, v6, 24
	v_add_u32_e32 v7, v27, v7
	s_waitcnt vmcnt(0)
	v_add_co_u32_e32 v6, vcc, v22, v6
	v_addc_co_u32_e32 v7, vcc, v23, v7, vcc
	global_load_dwordx2 v[22:23], v[6:7], off glc
	s_waitcnt vmcnt(0)
	global_atomic_cmpswap_x2 v[6:7], v26, v[22:25], s[2:3] offset:24 glc
	s_waitcnt vmcnt(0)
	buffer_wbinvl1_vol
	v_cmp_ne_u64_e32 vcc, v[6:7], v[24:25]
	s_and_saveexec_b64 s[12:13], vcc
	s_cbranch_execz .LBB16_251
; %bb.248:                              ;   in Loop: Header=BB16_190 Depth=1
	s_mov_b64 s[14:15], 0
.LBB16_249:                             ;   Parent Loop BB16_190 Depth=1
                                        ; =>  This Inner Loop Header: Depth=2
	s_sleep 1
	global_load_dwordx2 v[22:23], v26, s[2:3] offset:40
	global_load_dwordx2 v[27:28], v26, s[2:3]
	v_mov_b32_e32 v25, v7
	v_mov_b32_e32 v24, v6
	s_waitcnt vmcnt(1)
	v_and_b32_e32 v6, v22, v24
	s_waitcnt vmcnt(0)
	v_mad_u64_u32 v[6:7], s[16:17], v6, 24, v[27:28]
	v_and_b32_e32 v22, v23, v25
	v_mad_u64_u32 v[22:23], s[16:17], v22, 24, v[7:8]
	v_mov_b32_e32 v7, v22
	global_load_dwordx2 v[22:23], v[6:7], off glc
	s_waitcnt vmcnt(0)
	global_atomic_cmpswap_x2 v[6:7], v26, v[22:25], s[2:3] offset:24 glc
	s_waitcnt vmcnt(0)
	buffer_wbinvl1_vol
	v_cmp_eq_u64_e32 vcc, v[6:7], v[24:25]
	s_or_b64 s[14:15], vcc, s[14:15]
	s_andn2_b64 exec, exec, s[14:15]
	s_cbranch_execnz .LBB16_249
; %bb.250:                              ;   in Loop: Header=BB16_190 Depth=1
	s_or_b64 exec, exec, s[14:15]
.LBB16_251:                             ;   in Loop: Header=BB16_190 Depth=1
	s_or_b64 exec, exec, s[12:13]
.LBB16_252:                             ;   in Loop: Header=BB16_190 Depth=1
	s_or_b64 exec, exec, s[10:11]
	global_load_dwordx2 v[27:28], v26, s[2:3] offset:40
	global_load_dwordx4 v[22:25], v26, s[2:3]
	v_readfirstlane_b32 s11, v7
	v_readfirstlane_b32 s10, v6
	s_mov_b64 s[12:13], exec
	s_waitcnt vmcnt(1)
	v_readfirstlane_b32 s14, v27
	v_readfirstlane_b32 s15, v28
	s_and_b64 s[14:15], s[14:15], s[10:11]
	s_mul_i32 s16, s15, 24
	s_mul_hi_u32 s17, s14, 24
	s_mul_i32 s18, s14, 24
	s_add_i32 s16, s17, s16
	v_mov_b32_e32 v6, s16
	s_waitcnt vmcnt(0)
	v_add_co_u32_e32 v27, vcc, s18, v22
	v_addc_co_u32_e32 v28, vcc, v23, v6, vcc
	s_and_saveexec_b64 s[16:17], s[0:1]
	s_cbranch_execz .LBB16_254
; %bb.253:                              ;   in Loop: Header=BB16_190 Depth=1
	v_mov_b32_e32 v6, s12
	v_mov_b32_e32 v7, s13
	global_store_dwordx4 v[27:28], v[6:9], off offset:8
.LBB16_254:                             ;   in Loop: Header=BB16_190 Depth=1
	s_or_b64 exec, exec, s[16:17]
	s_lshl_b64 s[12:13], s[14:15], 12
	v_mov_b32_e32 v6, s13
	v_add_co_u32_e32 v24, vcc, s12, v24
	v_addc_co_u32_e32 v30, vcc, v25, v6, vcc
	v_cmp_lt_u64_e64 vcc, s[6:7], 57
	s_lshl_b32 s12, s8, 2
	v_cndmask_b32_e32 v6, 0, v29, vcc
	s_add_i32 s12, s12, 28
	v_and_b32_e32 v0, 0xffffff1f, v0
	s_and_b32 s12, s12, 0x1e0
	v_or_b32_e32 v0, v0, v6
	v_or_b32_e32 v0, s12, v0
	v_readfirstlane_b32 s12, v24
	v_readfirstlane_b32 s13, v30
	s_nop 4
	global_store_dwordx4 v31, v[0:3], s[12:13]
	global_store_dwordx4 v31, v[10:13], s[12:13] offset:16
	global_store_dwordx4 v31, v[14:17], s[12:13] offset:32
	;; [unrolled: 1-line block ×3, first 2 shown]
	s_and_saveexec_b64 s[12:13], s[0:1]
	s_cbranch_execz .LBB16_262
; %bb.255:                              ;   in Loop: Header=BB16_190 Depth=1
	global_load_dwordx2 v[12:13], v26, s[2:3] offset:32 glc
	global_load_dwordx2 v[0:1], v26, s[2:3] offset:40
	v_mov_b32_e32 v10, s10
	v_mov_b32_e32 v11, s11
	s_waitcnt vmcnt(0)
	v_readfirstlane_b32 s14, v0
	v_readfirstlane_b32 s15, v1
	s_and_b64 s[14:15], s[14:15], s[10:11]
	s_mul_i32 s15, s15, 24
	s_mul_hi_u32 s16, s14, 24
	s_mul_i32 s14, s14, 24
	s_add_i32 s15, s16, s15
	v_mov_b32_e32 v0, s15
	v_add_co_u32_e32 v6, vcc, s14, v22
	v_addc_co_u32_e32 v7, vcc, v23, v0, vcc
	global_store_dwordx2 v[6:7], v[12:13], off
	s_waitcnt vmcnt(0)
	global_atomic_cmpswap_x2 v[2:3], v26, v[10:13], s[2:3] offset:32 glc
	s_waitcnt vmcnt(0)
	v_cmp_ne_u64_e32 vcc, v[2:3], v[12:13]
	s_and_saveexec_b64 s[14:15], vcc
	s_cbranch_execz .LBB16_258
; %bb.256:                              ;   in Loop: Header=BB16_190 Depth=1
	s_mov_b64 s[16:17], 0
.LBB16_257:                             ;   Parent Loop BB16_190 Depth=1
                                        ; =>  This Inner Loop Header: Depth=2
	s_sleep 1
	global_store_dwordx2 v[6:7], v[2:3], off
	v_mov_b32_e32 v0, s10
	v_mov_b32_e32 v1, s11
	s_waitcnt vmcnt(0)
	global_atomic_cmpswap_x2 v[0:1], v26, v[0:3], s[2:3] offset:32 glc
	s_waitcnt vmcnt(0)
	v_cmp_eq_u64_e32 vcc, v[0:1], v[2:3]
	v_mov_b32_e32 v3, v1
	s_or_b64 s[16:17], vcc, s[16:17]
	v_mov_b32_e32 v2, v0
	s_andn2_b64 exec, exec, s[16:17]
	s_cbranch_execnz .LBB16_257
.LBB16_258:                             ;   in Loop: Header=BB16_190 Depth=1
	s_or_b64 exec, exec, s[14:15]
	global_load_dwordx2 v[0:1], v26, s[2:3] offset:16
	s_mov_b64 s[16:17], exec
	v_mbcnt_lo_u32_b32 v2, s16, 0
	v_mbcnt_hi_u32_b32 v2, s17, v2
	v_cmp_eq_u32_e32 vcc, 0, v2
	s_and_saveexec_b64 s[14:15], vcc
	s_cbranch_execz .LBB16_260
; %bb.259:                              ;   in Loop: Header=BB16_190 Depth=1
	s_bcnt1_i32_b64 s16, s[16:17]
	v_mov_b32_e32 v25, s16
	s_waitcnt vmcnt(0)
	global_atomic_add_x2 v[0:1], v[25:26], off offset:8
.LBB16_260:                             ;   in Loop: Header=BB16_190 Depth=1
	s_or_b64 exec, exec, s[14:15]
	s_waitcnt vmcnt(0)
	global_load_dwordx2 v[2:3], v[0:1], off offset:16
	s_waitcnt vmcnt(0)
	v_cmp_eq_u64_e32 vcc, 0, v[2:3]
	s_cbranch_vccnz .LBB16_262
; %bb.261:                              ;   in Loop: Header=BB16_190 Depth=1
	global_load_dword v25, v[0:1], off offset:24
	s_waitcnt vmcnt(0)
	v_readfirstlane_b32 s14, v25
	s_and_b32 m0, s14, 0xffffff
	global_store_dwordx2 v[2:3], v[25:26], off
	s_sendmsg sendmsg(MSG_INTERRUPT)
.LBB16_262:                             ;   in Loop: Header=BB16_190 Depth=1
	s_or_b64 exec, exec, s[12:13]
	v_add_co_u32_e32 v0, vcc, v24, v31
	v_addc_co_u32_e32 v1, vcc, 0, v30, vcc
	s_branch .LBB16_266
.LBB16_263:                             ;   in Loop: Header=BB16_266 Depth=2
	s_or_b64 exec, exec, s[12:13]
	v_readfirstlane_b32 s12, v2
	s_cmp_eq_u32 s12, 0
	s_cbranch_scc1 .LBB16_265
; %bb.264:                              ;   in Loop: Header=BB16_266 Depth=2
	s_sleep 1
	s_cbranch_execnz .LBB16_266
	s_branch .LBB16_268
.LBB16_265:                             ;   in Loop: Header=BB16_190 Depth=1
	s_branch .LBB16_268
.LBB16_266:                             ;   Parent Loop BB16_190 Depth=1
                                        ; =>  This Inner Loop Header: Depth=2
	v_mov_b32_e32 v2, 1
	s_and_saveexec_b64 s[12:13], s[0:1]
	s_cbranch_execz .LBB16_263
; %bb.267:                              ;   in Loop: Header=BB16_266 Depth=2
	global_load_dword v2, v[27:28], off offset:20 glc
	s_waitcnt vmcnt(0)
	buffer_wbinvl1_vol
	v_and_b32_e32 v2, 1, v2
	s_branch .LBB16_263
.LBB16_268:                             ;   in Loop: Header=BB16_190 Depth=1
	global_load_dwordx2 v[0:1], v[0:1], off
	s_and_saveexec_b64 s[12:13], s[0:1]
	s_cbranch_execz .LBB16_189
; %bb.269:                              ;   in Loop: Header=BB16_190 Depth=1
	global_load_dwordx2 v[2:3], v26, s[2:3] offset:40
	global_load_dwordx2 v[14:15], v26, s[2:3] offset:24 glc
	global_load_dwordx2 v[6:7], v26, s[2:3]
	s_waitcnt vmcnt(2)
	v_readfirstlane_b32 s14, v2
	v_readfirstlane_b32 s15, v3
	s_add_u32 s16, s14, 1
	s_addc_u32 s17, s15, 0
	s_add_u32 s0, s16, s10
	s_addc_u32 s1, s17, s11
	s_cmp_eq_u64 s[0:1], 0
	s_cselect_b32 s1, s17, s1
	s_cselect_b32 s0, s16, s0
	s_and_b64 s[10:11], s[0:1], s[14:15]
	s_mul_i32 s11, s11, 24
	s_mul_hi_u32 s14, s10, 24
	s_mul_i32 s10, s10, 24
	s_add_i32 s11, s14, s11
	v_mov_b32_e32 v3, s11
	s_waitcnt vmcnt(0)
	v_add_co_u32_e32 v2, vcc, s10, v6
	v_addc_co_u32_e32 v3, vcc, v7, v3, vcc
	v_mov_b32_e32 v12, s0
	global_store_dwordx2 v[2:3], v[14:15], off
	v_mov_b32_e32 v13, s1
	s_waitcnt vmcnt(0)
	global_atomic_cmpswap_x2 v[12:13], v26, v[12:15], s[2:3] offset:24 glc
	s_waitcnt vmcnt(0)
	v_cmp_ne_u64_e32 vcc, v[12:13], v[14:15]
	s_and_b64 exec, exec, vcc
	s_cbranch_execz .LBB16_189
; %bb.270:                              ;   in Loop: Header=BB16_190 Depth=1
	s_mov_b64 s[10:11], 0
.LBB16_271:                             ;   Parent Loop BB16_190 Depth=1
                                        ; =>  This Inner Loop Header: Depth=2
	s_sleep 1
	global_store_dwordx2 v[2:3], v[12:13], off
	v_mov_b32_e32 v10, s0
	v_mov_b32_e32 v11, s1
	s_waitcnt vmcnt(0)
	global_atomic_cmpswap_x2 v[6:7], v26, v[10:13], s[2:3] offset:24 glc
	s_waitcnt vmcnt(0)
	v_cmp_eq_u64_e32 vcc, v[6:7], v[12:13]
	v_mov_b32_e32 v13, v7
	s_or_b64 s[10:11], vcc, s[10:11]
	v_mov_b32_e32 v12, v6
	s_andn2_b64 exec, exec, s[10:11]
	s_cbranch_execnz .LBB16_271
	s_branch .LBB16_189
.LBB16_272:
	s_mov_b64 s[0:1], -1
                                        ; implicit-def: $vgpr0_vgpr1
	s_branch .LBB16_274
.LBB16_273:
	s_mov_b64 s[0:1], 0
.LBB16_274:
	s_and_b64 vcc, exec, s[0:1]
	s_cbranch_vccz .LBB16_301
; %bb.275:
	v_readfirstlane_b32 s0, v32
	v_mov_b32_e32 v7, 0
	v_mov_b32_e32 v8, 0
	v_cmp_eq_u32_e64 s[0:1], s0, v32
	s_and_saveexec_b64 s[4:5], s[0:1]
	s_cbranch_execz .LBB16_281
; %bb.276:
	s_waitcnt vmcnt(0)
	v_mov_b32_e32 v0, 0
	global_load_dwordx2 v[9:10], v0, s[2:3] offset:24 glc
	s_waitcnt vmcnt(0)
	buffer_wbinvl1_vol
	global_load_dwordx2 v[1:2], v0, s[2:3] offset:40
	global_load_dwordx2 v[6:7], v0, s[2:3]
	s_waitcnt vmcnt(1)
	v_and_b32_e32 v1, v1, v9
	v_and_b32_e32 v2, v2, v10
	v_mul_lo_u32 v2, v2, 24
	v_mul_hi_u32 v3, v1, 24
	v_mul_lo_u32 v1, v1, 24
	v_add_u32_e32 v2, v3, v2
	s_waitcnt vmcnt(0)
	v_add_co_u32_e32 v1, vcc, v6, v1
	v_addc_co_u32_e32 v2, vcc, v7, v2, vcc
	global_load_dwordx2 v[7:8], v[1:2], off glc
	s_waitcnt vmcnt(0)
	global_atomic_cmpswap_x2 v[7:8], v0, v[7:10], s[2:3] offset:24 glc
	s_waitcnt vmcnt(0)
	buffer_wbinvl1_vol
	v_cmp_ne_u64_e32 vcc, v[7:8], v[9:10]
	s_and_saveexec_b64 s[6:7], vcc
	s_cbranch_execz .LBB16_280
; %bb.277:
	s_mov_b64 s[8:9], 0
.LBB16_278:                             ; =>This Inner Loop Header: Depth=1
	s_sleep 1
	global_load_dwordx2 v[1:2], v0, s[2:3] offset:40
	global_load_dwordx2 v[11:12], v0, s[2:3]
	v_mov_b32_e32 v10, v8
	v_mov_b32_e32 v9, v7
	s_waitcnt vmcnt(1)
	v_and_b32_e32 v1, v1, v9
	s_waitcnt vmcnt(0)
	v_mad_u64_u32 v[6:7], s[10:11], v1, 24, v[11:12]
	v_and_b32_e32 v2, v2, v10
	v_mov_b32_e32 v1, v7
	v_mad_u64_u32 v[1:2], s[10:11], v2, 24, v[1:2]
	v_mov_b32_e32 v7, v1
	global_load_dwordx2 v[7:8], v[6:7], off glc
	s_waitcnt vmcnt(0)
	global_atomic_cmpswap_x2 v[7:8], v0, v[7:10], s[2:3] offset:24 glc
	s_waitcnt vmcnt(0)
	buffer_wbinvl1_vol
	v_cmp_eq_u64_e32 vcc, v[7:8], v[9:10]
	s_or_b64 s[8:9], vcc, s[8:9]
	s_andn2_b64 exec, exec, s[8:9]
	s_cbranch_execnz .LBB16_278
; %bb.279:
	s_or_b64 exec, exec, s[8:9]
.LBB16_280:
	s_or_b64 exec, exec, s[6:7]
.LBB16_281:
	s_or_b64 exec, exec, s[4:5]
	v_mov_b32_e32 v6, 0
	global_load_dwordx2 v[9:10], v6, s[2:3] offset:40
	global_load_dwordx4 v[0:3], v6, s[2:3]
	v_readfirstlane_b32 s5, v8
	v_readfirstlane_b32 s4, v7
	s_mov_b64 s[6:7], exec
	s_waitcnt vmcnt(1)
	v_readfirstlane_b32 s8, v9
	v_readfirstlane_b32 s9, v10
	s_and_b64 s[8:9], s[8:9], s[4:5]
	s_mul_i32 s10, s9, 24
	s_mul_hi_u32 s11, s8, 24
	s_mul_i32 s12, s8, 24
	s_add_i32 s10, s11, s10
	v_mov_b32_e32 v7, s10
	s_waitcnt vmcnt(0)
	v_add_co_u32_e32 v8, vcc, s12, v0
	v_addc_co_u32_e32 v9, vcc, v1, v7, vcc
	s_and_saveexec_b64 s[10:11], s[0:1]
	s_cbranch_execz .LBB16_283
; %bb.282:
	v_mov_b32_e32 v11, s7
	v_mov_b32_e32 v10, s6
	;; [unrolled: 1-line block ×4, first 2 shown]
	global_store_dwordx4 v[8:9], v[10:13], off offset:8
.LBB16_283:
	s_or_b64 exec, exec, s[10:11]
	s_lshl_b64 s[6:7], s[8:9], 12
	v_mov_b32_e32 v7, s7
	v_add_co_u32_e32 v2, vcc, s6, v2
	v_addc_co_u32_e32 v3, vcc, v3, v7, vcc
	s_movk_i32 s6, 0xff1f
	v_and_or_b32 v4, v4, s6, 32
	v_add_co_u32_e32 v10, vcc, v2, v31
	s_mov_b32 s8, 0
	v_mov_b32_e32 v7, v6
	v_readfirstlane_b32 s6, v2
	v_readfirstlane_b32 s7, v3
	v_addc_co_u32_e32 v11, vcc, 0, v3, vcc
	s_mov_b32 s9, s8
	s_mov_b32 s10, s8
	;; [unrolled: 1-line block ×3, first 2 shown]
	s_nop 0
	global_store_dwordx4 v31, v[4:7], s[6:7]
	v_mov_b32_e32 v2, s8
	v_mov_b32_e32 v3, s9
	;; [unrolled: 1-line block ×4, first 2 shown]
	global_store_dwordx4 v31, v[2:5], s[6:7] offset:16
	global_store_dwordx4 v31, v[2:5], s[6:7] offset:32
	;; [unrolled: 1-line block ×3, first 2 shown]
	s_and_saveexec_b64 s[6:7], s[0:1]
	s_cbranch_execz .LBB16_291
; %bb.284:
	v_mov_b32_e32 v6, 0
	global_load_dwordx2 v[14:15], v6, s[2:3] offset:32 glc
	global_load_dwordx2 v[2:3], v6, s[2:3] offset:40
	v_mov_b32_e32 v12, s4
	v_mov_b32_e32 v13, s5
	s_waitcnt vmcnt(0)
	v_readfirstlane_b32 s8, v2
	v_readfirstlane_b32 s9, v3
	s_and_b64 s[8:9], s[8:9], s[4:5]
	s_mul_i32 s9, s9, 24
	s_mul_hi_u32 s10, s8, 24
	s_mul_i32 s8, s8, 24
	s_add_i32 s9, s10, s9
	v_mov_b32_e32 v2, s9
	v_add_co_u32_e32 v4, vcc, s8, v0
	v_addc_co_u32_e32 v5, vcc, v1, v2, vcc
	global_store_dwordx2 v[4:5], v[14:15], off
	s_waitcnt vmcnt(0)
	global_atomic_cmpswap_x2 v[2:3], v6, v[12:15], s[2:3] offset:32 glc
	s_waitcnt vmcnt(0)
	v_cmp_ne_u64_e32 vcc, v[2:3], v[14:15]
	s_and_saveexec_b64 s[8:9], vcc
	s_cbranch_execz .LBB16_287
; %bb.285:
	s_mov_b64 s[10:11], 0
.LBB16_286:                             ; =>This Inner Loop Header: Depth=1
	s_sleep 1
	global_store_dwordx2 v[4:5], v[2:3], off
	v_mov_b32_e32 v0, s4
	v_mov_b32_e32 v1, s5
	s_waitcnt vmcnt(0)
	global_atomic_cmpswap_x2 v[0:1], v6, v[0:3], s[2:3] offset:32 glc
	s_waitcnt vmcnt(0)
	v_cmp_eq_u64_e32 vcc, v[0:1], v[2:3]
	v_mov_b32_e32 v3, v1
	s_or_b64 s[10:11], vcc, s[10:11]
	v_mov_b32_e32 v2, v0
	s_andn2_b64 exec, exec, s[10:11]
	s_cbranch_execnz .LBB16_286
.LBB16_287:
	s_or_b64 exec, exec, s[8:9]
	v_mov_b32_e32 v3, 0
	global_load_dwordx2 v[0:1], v3, s[2:3] offset:16
	s_mov_b64 s[8:9], exec
	v_mbcnt_lo_u32_b32 v2, s8, 0
	v_mbcnt_hi_u32_b32 v2, s9, v2
	v_cmp_eq_u32_e32 vcc, 0, v2
	s_and_saveexec_b64 s[10:11], vcc
	s_cbranch_execz .LBB16_289
; %bb.288:
	s_bcnt1_i32_b64 s8, s[8:9]
	v_mov_b32_e32 v2, s8
	s_waitcnt vmcnt(0)
	global_atomic_add_x2 v[0:1], v[2:3], off offset:8
.LBB16_289:
	s_or_b64 exec, exec, s[10:11]
	s_waitcnt vmcnt(0)
	global_load_dwordx2 v[2:3], v[0:1], off offset:16
	s_waitcnt vmcnt(0)
	v_cmp_eq_u64_e32 vcc, 0, v[2:3]
	s_cbranch_vccnz .LBB16_291
; %bb.290:
	global_load_dword v0, v[0:1], off offset:24
	v_mov_b32_e32 v1, 0
	s_waitcnt vmcnt(0)
	v_readfirstlane_b32 s8, v0
	s_and_b32 m0, s8, 0xffffff
	global_store_dwordx2 v[2:3], v[0:1], off
	s_sendmsg sendmsg(MSG_INTERRUPT)
.LBB16_291:
	s_or_b64 exec, exec, s[6:7]
	s_branch .LBB16_295
.LBB16_292:                             ;   in Loop: Header=BB16_295 Depth=1
	s_or_b64 exec, exec, s[6:7]
	v_readfirstlane_b32 s6, v0
	s_cmp_eq_u32 s6, 0
	s_cbranch_scc1 .LBB16_294
; %bb.293:                              ;   in Loop: Header=BB16_295 Depth=1
	s_sleep 1
	s_cbranch_execnz .LBB16_295
	s_branch .LBB16_297
.LBB16_294:
	s_branch .LBB16_297
.LBB16_295:                             ; =>This Inner Loop Header: Depth=1
	v_mov_b32_e32 v0, 1
	s_and_saveexec_b64 s[6:7], s[0:1]
	s_cbranch_execz .LBB16_292
; %bb.296:                              ;   in Loop: Header=BB16_295 Depth=1
	global_load_dword v0, v[8:9], off offset:20 glc
	s_waitcnt vmcnt(0)
	buffer_wbinvl1_vol
	v_and_b32_e32 v0, 1, v0
	s_branch .LBB16_292
.LBB16_297:
	global_load_dwordx2 v[0:1], v[10:11], off
	s_and_saveexec_b64 s[6:7], s[0:1]
	s_cbranch_execz .LBB16_300
; %bb.298:
	v_mov_b32_e32 v8, 0
	global_load_dwordx2 v[2:3], v8, s[2:3] offset:40
	global_load_dwordx2 v[11:12], v8, s[2:3] offset:24 glc
	global_load_dwordx2 v[4:5], v8, s[2:3]
	s_waitcnt vmcnt(2)
	v_readfirstlane_b32 s8, v2
	v_readfirstlane_b32 s9, v3
	s_add_u32 s10, s8, 1
	s_addc_u32 s11, s9, 0
	s_add_u32 s0, s10, s4
	s_addc_u32 s1, s11, s5
	s_cmp_eq_u64 s[0:1], 0
	s_cselect_b32 s1, s11, s1
	s_cselect_b32 s0, s10, s0
	s_and_b64 s[4:5], s[0:1], s[8:9]
	s_mul_i32 s5, s5, 24
	s_mul_hi_u32 s8, s4, 24
	s_mul_i32 s4, s4, 24
	s_add_i32 s5, s8, s5
	v_mov_b32_e32 v2, s5
	s_waitcnt vmcnt(0)
	v_add_co_u32_e32 v6, vcc, s4, v4
	v_addc_co_u32_e32 v7, vcc, v5, v2, vcc
	v_mov_b32_e32 v9, s0
	global_store_dwordx2 v[6:7], v[11:12], off
	v_mov_b32_e32 v10, s1
	s_waitcnt vmcnt(0)
	global_atomic_cmpswap_x2 v[4:5], v8, v[9:12], s[2:3] offset:24 glc
	s_mov_b64 s[4:5], 0
	s_waitcnt vmcnt(0)
	v_cmp_ne_u64_e32 vcc, v[4:5], v[11:12]
	s_and_b64 exec, exec, vcc
	s_cbranch_execz .LBB16_300
.LBB16_299:                             ; =>This Inner Loop Header: Depth=1
	s_sleep 1
	global_store_dwordx2 v[6:7], v[4:5], off
	v_mov_b32_e32 v2, s0
	v_mov_b32_e32 v3, s1
	s_waitcnt vmcnt(0)
	global_atomic_cmpswap_x2 v[2:3], v8, v[2:5], s[2:3] offset:24 glc
	s_waitcnt vmcnt(0)
	v_cmp_eq_u64_e32 vcc, v[2:3], v[4:5]
	v_mov_b32_e32 v5, v3
	s_or_b64 s[4:5], vcc, s[4:5]
	v_mov_b32_e32 v4, v2
	s_andn2_b64 exec, exec, s[4:5]
	s_cbranch_execnz .LBB16_299
.LBB16_300:
	s_or_b64 exec, exec, s[6:7]
.LBB16_301:
	s_getpc_b64 s[4:5]
	s_add_u32 s4, s4, __FUNCTION__._ZN9rocsparseL38csr2csr_compress_use_warp_start_deviceILj256ELj32ELj2EfEEvi21rocsparse_index_base_PKT2_PKiS1_PS2_PiPKjS2_@rel32@lo+4
	s_addc_u32 s5, s5, __FUNCTION__._ZN9rocsparseL38csr2csr_compress_use_warp_start_deviceILj256ELj32ELj2EfEEvi21rocsparse_index_base_PKT2_PKiS1_PS2_PiPKjS2_@rel32@hi+12
	s_cmp_lg_u64 s[4:5], 0
	s_cbranch_scc0 .LBB16_386
; %bb.302:
	s_waitcnt vmcnt(0)
	v_and_b32_e32 v29, 2, v0
	v_mov_b32_e32 v26, 0
	v_and_b32_e32 v2, -3, v0
	v_mov_b32_e32 v3, v1
	s_mov_b64 s[6:7], 39
	v_mov_b32_e32 v8, 2
	v_mov_b32_e32 v9, 1
	s_branch .LBB16_304
.LBB16_303:                             ;   in Loop: Header=BB16_304 Depth=1
	s_or_b64 exec, exec, s[12:13]
	s_sub_u32 s6, s6, s8
	s_subb_u32 s7, s7, s9
	s_add_u32 s4, s4, s8
	s_addc_u32 s5, s5, s9
	s_cmp_lg_u64 s[6:7], 0
	s_cbranch_scc0 .LBB16_387
.LBB16_304:                             ; =>This Loop Header: Depth=1
                                        ;     Child Loop BB16_307 Depth 2
                                        ;     Child Loop BB16_315 Depth 2
	;; [unrolled: 1-line block ×11, first 2 shown]
	v_cmp_lt_u64_e64 s[0:1], s[6:7], 56
	v_cmp_gt_u64_e64 s[10:11], s[6:7], 7
	s_and_b64 s[0:1], s[0:1], exec
	s_cselect_b32 s9, s7, 0
	s_cselect_b32 s8, s6, 56
	s_add_u32 s0, s4, 8
	s_addc_u32 s1, s5, 0
	s_and_b64 vcc, exec, s[10:11]
	s_cbranch_vccnz .LBB16_308
; %bb.305:                              ;   in Loop: Header=BB16_304 Depth=1
	s_cmp_eq_u64 s[6:7], 0
	s_cbranch_scc1 .LBB16_309
; %bb.306:                              ;   in Loop: Header=BB16_304 Depth=1
	v_mov_b32_e32 v4, 0
	s_lshl_b64 s[0:1], s[8:9], 3
	s_mov_b64 s[10:11], 0
	v_mov_b32_e32 v5, 0
	s_mov_b64 s[12:13], s[4:5]
.LBB16_307:                             ;   Parent Loop BB16_304 Depth=1
                                        ; =>  This Inner Loop Header: Depth=2
	global_load_ubyte v6, v26, s[12:13]
	s_waitcnt vmcnt(0)
	v_and_b32_e32 v25, 0xffff, v6
	v_lshlrev_b64 v[6:7], s10, v[25:26]
	s_add_u32 s10, s10, 8
	s_addc_u32 s11, s11, 0
	s_add_u32 s12, s12, 1
	s_addc_u32 s13, s13, 0
	v_or_b32_e32 v4, v6, v4
	s_cmp_lg_u32 s0, s10
	v_or_b32_e32 v5, v7, v5
	s_cbranch_scc1 .LBB16_307
	s_branch .LBB16_310
.LBB16_308:                             ;   in Loop: Header=BB16_304 Depth=1
	s_mov_b32 s14, 0
	s_branch .LBB16_311
.LBB16_309:                             ;   in Loop: Header=BB16_304 Depth=1
	v_mov_b32_e32 v4, 0
	v_mov_b32_e32 v5, 0
.LBB16_310:                             ;   in Loop: Header=BB16_304 Depth=1
	s_mov_b64 s[0:1], s[4:5]
	s_mov_b32 s14, 0
	s_cbranch_execnz .LBB16_312
.LBB16_311:                             ;   in Loop: Header=BB16_304 Depth=1
	global_load_dwordx2 v[4:5], v26, s[4:5]
	s_add_i32 s14, s8, -8
.LBB16_312:                             ;   in Loop: Header=BB16_304 Depth=1
	s_add_u32 s10, s0, 8
	s_addc_u32 s11, s1, 0
	s_cmp_gt_u32 s14, 7
	s_cbranch_scc1 .LBB16_316
; %bb.313:                              ;   in Loop: Header=BB16_304 Depth=1
	s_cmp_eq_u32 s14, 0
	s_cbranch_scc1 .LBB16_317
; %bb.314:                              ;   in Loop: Header=BB16_304 Depth=1
	v_mov_b32_e32 v10, 0
	s_mov_b64 s[10:11], 0
	v_mov_b32_e32 v11, 0
	s_mov_b64 s[12:13], 0
.LBB16_315:                             ;   Parent Loop BB16_304 Depth=1
                                        ; =>  This Inner Loop Header: Depth=2
	s_add_u32 s16, s0, s12
	s_addc_u32 s17, s1, s13
	global_load_ubyte v6, v26, s[16:17]
	s_add_u32 s12, s12, 1
	s_addc_u32 s13, s13, 0
	s_waitcnt vmcnt(0)
	v_and_b32_e32 v25, 0xffff, v6
	v_lshlrev_b64 v[6:7], s10, v[25:26]
	s_add_u32 s10, s10, 8
	s_addc_u32 s11, s11, 0
	v_or_b32_e32 v10, v6, v10
	s_cmp_lg_u32 s14, s12
	v_or_b32_e32 v11, v7, v11
	s_cbranch_scc1 .LBB16_315
	s_branch .LBB16_318
.LBB16_316:                             ;   in Loop: Header=BB16_304 Depth=1
                                        ; implicit-def: $vgpr10_vgpr11
	s_mov_b32 s15, 0
	s_branch .LBB16_319
.LBB16_317:                             ;   in Loop: Header=BB16_304 Depth=1
	v_mov_b32_e32 v10, 0
	v_mov_b32_e32 v11, 0
.LBB16_318:                             ;   in Loop: Header=BB16_304 Depth=1
	s_mov_b64 s[10:11], s[0:1]
	s_mov_b32 s15, 0
	s_cbranch_execnz .LBB16_320
.LBB16_319:                             ;   in Loop: Header=BB16_304 Depth=1
	global_load_dwordx2 v[10:11], v26, s[0:1]
	s_add_i32 s15, s14, -8
.LBB16_320:                             ;   in Loop: Header=BB16_304 Depth=1
	s_add_u32 s0, s10, 8
	s_addc_u32 s1, s11, 0
	s_cmp_gt_u32 s15, 7
	s_cbranch_scc1 .LBB16_324
; %bb.321:                              ;   in Loop: Header=BB16_304 Depth=1
	s_cmp_eq_u32 s15, 0
	s_cbranch_scc1 .LBB16_325
; %bb.322:                              ;   in Loop: Header=BB16_304 Depth=1
	v_mov_b32_e32 v12, 0
	s_mov_b64 s[0:1], 0
	v_mov_b32_e32 v13, 0
	s_mov_b64 s[12:13], 0
.LBB16_323:                             ;   Parent Loop BB16_304 Depth=1
                                        ; =>  This Inner Loop Header: Depth=2
	s_add_u32 s16, s10, s12
	s_addc_u32 s17, s11, s13
	global_load_ubyte v6, v26, s[16:17]
	s_add_u32 s12, s12, 1
	s_addc_u32 s13, s13, 0
	s_waitcnt vmcnt(0)
	v_and_b32_e32 v25, 0xffff, v6
	v_lshlrev_b64 v[6:7], s0, v[25:26]
	s_add_u32 s0, s0, 8
	s_addc_u32 s1, s1, 0
	v_or_b32_e32 v12, v6, v12
	s_cmp_lg_u32 s15, s12
	v_or_b32_e32 v13, v7, v13
	s_cbranch_scc1 .LBB16_323
	s_branch .LBB16_326
.LBB16_324:                             ;   in Loop: Header=BB16_304 Depth=1
	s_mov_b32 s14, 0
	s_branch .LBB16_327
.LBB16_325:                             ;   in Loop: Header=BB16_304 Depth=1
	v_mov_b32_e32 v12, 0
	v_mov_b32_e32 v13, 0
.LBB16_326:                             ;   in Loop: Header=BB16_304 Depth=1
	s_mov_b64 s[0:1], s[10:11]
	s_mov_b32 s14, 0
	s_cbranch_execnz .LBB16_328
.LBB16_327:                             ;   in Loop: Header=BB16_304 Depth=1
	global_load_dwordx2 v[12:13], v26, s[10:11]
	s_add_i32 s14, s15, -8
.LBB16_328:                             ;   in Loop: Header=BB16_304 Depth=1
	s_add_u32 s10, s0, 8
	s_addc_u32 s11, s1, 0
	s_cmp_gt_u32 s14, 7
	s_cbranch_scc1 .LBB16_332
; %bb.329:                              ;   in Loop: Header=BB16_304 Depth=1
	s_cmp_eq_u32 s14, 0
	s_cbranch_scc1 .LBB16_333
; %bb.330:                              ;   in Loop: Header=BB16_304 Depth=1
	v_mov_b32_e32 v14, 0
	s_mov_b64 s[10:11], 0
	v_mov_b32_e32 v15, 0
	s_mov_b64 s[12:13], 0
.LBB16_331:                             ;   Parent Loop BB16_304 Depth=1
                                        ; =>  This Inner Loop Header: Depth=2
	s_add_u32 s16, s0, s12
	s_addc_u32 s17, s1, s13
	global_load_ubyte v6, v26, s[16:17]
	s_add_u32 s12, s12, 1
	s_addc_u32 s13, s13, 0
	s_waitcnt vmcnt(0)
	v_and_b32_e32 v25, 0xffff, v6
	v_lshlrev_b64 v[6:7], s10, v[25:26]
	s_add_u32 s10, s10, 8
	s_addc_u32 s11, s11, 0
	v_or_b32_e32 v14, v6, v14
	s_cmp_lg_u32 s14, s12
	v_or_b32_e32 v15, v7, v15
	s_cbranch_scc1 .LBB16_331
	s_branch .LBB16_334
.LBB16_332:                             ;   in Loop: Header=BB16_304 Depth=1
                                        ; implicit-def: $vgpr14_vgpr15
	s_mov_b32 s15, 0
	s_branch .LBB16_335
.LBB16_333:                             ;   in Loop: Header=BB16_304 Depth=1
	v_mov_b32_e32 v14, 0
	v_mov_b32_e32 v15, 0
.LBB16_334:                             ;   in Loop: Header=BB16_304 Depth=1
	s_mov_b64 s[10:11], s[0:1]
	s_mov_b32 s15, 0
	s_cbranch_execnz .LBB16_336
.LBB16_335:                             ;   in Loop: Header=BB16_304 Depth=1
	global_load_dwordx2 v[14:15], v26, s[0:1]
	s_add_i32 s15, s14, -8
.LBB16_336:                             ;   in Loop: Header=BB16_304 Depth=1
	s_add_u32 s0, s10, 8
	s_addc_u32 s1, s11, 0
	s_cmp_gt_u32 s15, 7
	s_cbranch_scc1 .LBB16_340
; %bb.337:                              ;   in Loop: Header=BB16_304 Depth=1
	s_cmp_eq_u32 s15, 0
	s_cbranch_scc1 .LBB16_341
; %bb.338:                              ;   in Loop: Header=BB16_304 Depth=1
	v_mov_b32_e32 v16, 0
	s_mov_b64 s[0:1], 0
	v_mov_b32_e32 v17, 0
	s_mov_b64 s[12:13], 0
.LBB16_339:                             ;   Parent Loop BB16_304 Depth=1
                                        ; =>  This Inner Loop Header: Depth=2
	s_add_u32 s16, s10, s12
	s_addc_u32 s17, s11, s13
	global_load_ubyte v6, v26, s[16:17]
	s_add_u32 s12, s12, 1
	s_addc_u32 s13, s13, 0
	s_waitcnt vmcnt(0)
	v_and_b32_e32 v25, 0xffff, v6
	v_lshlrev_b64 v[6:7], s0, v[25:26]
	s_add_u32 s0, s0, 8
	s_addc_u32 s1, s1, 0
	v_or_b32_e32 v16, v6, v16
	s_cmp_lg_u32 s15, s12
	v_or_b32_e32 v17, v7, v17
	s_cbranch_scc1 .LBB16_339
	s_branch .LBB16_342
.LBB16_340:                             ;   in Loop: Header=BB16_304 Depth=1
	s_mov_b32 s14, 0
	s_branch .LBB16_343
.LBB16_341:                             ;   in Loop: Header=BB16_304 Depth=1
	v_mov_b32_e32 v16, 0
	v_mov_b32_e32 v17, 0
.LBB16_342:                             ;   in Loop: Header=BB16_304 Depth=1
	s_mov_b64 s[0:1], s[10:11]
	s_mov_b32 s14, 0
	s_cbranch_execnz .LBB16_344
.LBB16_343:                             ;   in Loop: Header=BB16_304 Depth=1
	global_load_dwordx2 v[16:17], v26, s[10:11]
	s_add_i32 s14, s15, -8
.LBB16_344:                             ;   in Loop: Header=BB16_304 Depth=1
	s_add_u32 s10, s0, 8
	s_addc_u32 s11, s1, 0
	s_cmp_gt_u32 s14, 7
	s_cbranch_scc1 .LBB16_348
; %bb.345:                              ;   in Loop: Header=BB16_304 Depth=1
	s_cmp_eq_u32 s14, 0
	s_cbranch_scc1 .LBB16_349
; %bb.346:                              ;   in Loop: Header=BB16_304 Depth=1
	v_mov_b32_e32 v18, 0
	s_mov_b64 s[10:11], 0
	v_mov_b32_e32 v19, 0
	s_mov_b64 s[12:13], 0
.LBB16_347:                             ;   Parent Loop BB16_304 Depth=1
                                        ; =>  This Inner Loop Header: Depth=2
	s_add_u32 s16, s0, s12
	s_addc_u32 s17, s1, s13
	global_load_ubyte v6, v26, s[16:17]
	s_add_u32 s12, s12, 1
	s_addc_u32 s13, s13, 0
	s_waitcnt vmcnt(0)
	v_and_b32_e32 v25, 0xffff, v6
	v_lshlrev_b64 v[6:7], s10, v[25:26]
	s_add_u32 s10, s10, 8
	s_addc_u32 s11, s11, 0
	v_or_b32_e32 v18, v6, v18
	s_cmp_lg_u32 s14, s12
	v_or_b32_e32 v19, v7, v19
	s_cbranch_scc1 .LBB16_347
	s_branch .LBB16_350
.LBB16_348:                             ;   in Loop: Header=BB16_304 Depth=1
                                        ; implicit-def: $vgpr18_vgpr19
	s_mov_b32 s15, 0
	s_branch .LBB16_351
.LBB16_349:                             ;   in Loop: Header=BB16_304 Depth=1
	v_mov_b32_e32 v18, 0
	v_mov_b32_e32 v19, 0
.LBB16_350:                             ;   in Loop: Header=BB16_304 Depth=1
	s_mov_b64 s[10:11], s[0:1]
	s_mov_b32 s15, 0
	s_cbranch_execnz .LBB16_352
.LBB16_351:                             ;   in Loop: Header=BB16_304 Depth=1
	global_load_dwordx2 v[18:19], v26, s[0:1]
	s_add_i32 s15, s14, -8
.LBB16_352:                             ;   in Loop: Header=BB16_304 Depth=1
	s_cmp_gt_u32 s15, 7
	s_cbranch_scc1 .LBB16_356
; %bb.353:                              ;   in Loop: Header=BB16_304 Depth=1
	s_cmp_eq_u32 s15, 0
	s_cbranch_scc1 .LBB16_357
; %bb.354:                              ;   in Loop: Header=BB16_304 Depth=1
	v_mov_b32_e32 v20, 0
	s_mov_b64 s[0:1], 0
	v_mov_b32_e32 v21, 0
	s_mov_b64 s[12:13], s[10:11]
.LBB16_355:                             ;   Parent Loop BB16_304 Depth=1
                                        ; =>  This Inner Loop Header: Depth=2
	global_load_ubyte v6, v26, s[12:13]
	s_add_i32 s15, s15, -1
	s_waitcnt vmcnt(0)
	v_and_b32_e32 v25, 0xffff, v6
	v_lshlrev_b64 v[6:7], s0, v[25:26]
	s_add_u32 s0, s0, 8
	s_addc_u32 s1, s1, 0
	s_add_u32 s12, s12, 1
	s_addc_u32 s13, s13, 0
	v_or_b32_e32 v20, v6, v20
	s_cmp_lg_u32 s15, 0
	v_or_b32_e32 v21, v7, v21
	s_cbranch_scc1 .LBB16_355
	s_branch .LBB16_358
.LBB16_356:                             ;   in Loop: Header=BB16_304 Depth=1
	s_branch .LBB16_359
.LBB16_357:                             ;   in Loop: Header=BB16_304 Depth=1
	v_mov_b32_e32 v20, 0
	v_mov_b32_e32 v21, 0
.LBB16_358:                             ;   in Loop: Header=BB16_304 Depth=1
	s_cbranch_execnz .LBB16_360
.LBB16_359:                             ;   in Loop: Header=BB16_304 Depth=1
	global_load_dwordx2 v[20:21], v26, s[10:11]
.LBB16_360:                             ;   in Loop: Header=BB16_304 Depth=1
	v_readfirstlane_b32 s0, v32
	v_mov_b32_e32 v6, 0
	v_mov_b32_e32 v7, 0
	v_cmp_eq_u32_e64 s[0:1], s0, v32
	s_and_saveexec_b64 s[10:11], s[0:1]
	s_cbranch_execz .LBB16_366
; %bb.361:                              ;   in Loop: Header=BB16_304 Depth=1
	global_load_dwordx2 v[24:25], v26, s[2:3] offset:24 glc
	s_waitcnt vmcnt(0)
	buffer_wbinvl1_vol
	global_load_dwordx2 v[6:7], v26, s[2:3] offset:40
	global_load_dwordx2 v[22:23], v26, s[2:3]
	s_waitcnt vmcnt(1)
	v_and_b32_e32 v6, v6, v24
	v_and_b32_e32 v7, v7, v25
	v_mul_lo_u32 v7, v7, 24
	v_mul_hi_u32 v27, v6, 24
	v_mul_lo_u32 v6, v6, 24
	v_add_u32_e32 v7, v27, v7
	s_waitcnt vmcnt(0)
	v_add_co_u32_e32 v6, vcc, v22, v6
	v_addc_co_u32_e32 v7, vcc, v23, v7, vcc
	global_load_dwordx2 v[22:23], v[6:7], off glc
	s_waitcnt vmcnt(0)
	global_atomic_cmpswap_x2 v[6:7], v26, v[22:25], s[2:3] offset:24 glc
	s_waitcnt vmcnt(0)
	buffer_wbinvl1_vol
	v_cmp_ne_u64_e32 vcc, v[6:7], v[24:25]
	s_and_saveexec_b64 s[12:13], vcc
	s_cbranch_execz .LBB16_365
; %bb.362:                              ;   in Loop: Header=BB16_304 Depth=1
	s_mov_b64 s[14:15], 0
.LBB16_363:                             ;   Parent Loop BB16_304 Depth=1
                                        ; =>  This Inner Loop Header: Depth=2
	s_sleep 1
	global_load_dwordx2 v[22:23], v26, s[2:3] offset:40
	global_load_dwordx2 v[27:28], v26, s[2:3]
	v_mov_b32_e32 v25, v7
	v_mov_b32_e32 v24, v6
	s_waitcnt vmcnt(1)
	v_and_b32_e32 v6, v22, v24
	s_waitcnt vmcnt(0)
	v_mad_u64_u32 v[6:7], s[16:17], v6, 24, v[27:28]
	v_and_b32_e32 v22, v23, v25
	v_mad_u64_u32 v[22:23], s[16:17], v22, 24, v[7:8]
	v_mov_b32_e32 v7, v22
	global_load_dwordx2 v[22:23], v[6:7], off glc
	s_waitcnt vmcnt(0)
	global_atomic_cmpswap_x2 v[6:7], v26, v[22:25], s[2:3] offset:24 glc
	s_waitcnt vmcnt(0)
	buffer_wbinvl1_vol
	v_cmp_eq_u64_e32 vcc, v[6:7], v[24:25]
	s_or_b64 s[14:15], vcc, s[14:15]
	s_andn2_b64 exec, exec, s[14:15]
	s_cbranch_execnz .LBB16_363
; %bb.364:                              ;   in Loop: Header=BB16_304 Depth=1
	s_or_b64 exec, exec, s[14:15]
.LBB16_365:                             ;   in Loop: Header=BB16_304 Depth=1
	s_or_b64 exec, exec, s[12:13]
.LBB16_366:                             ;   in Loop: Header=BB16_304 Depth=1
	s_or_b64 exec, exec, s[10:11]
	global_load_dwordx2 v[27:28], v26, s[2:3] offset:40
	global_load_dwordx4 v[22:25], v26, s[2:3]
	v_readfirstlane_b32 s11, v7
	v_readfirstlane_b32 s10, v6
	s_mov_b64 s[12:13], exec
	s_waitcnt vmcnt(1)
	v_readfirstlane_b32 s14, v27
	v_readfirstlane_b32 s15, v28
	s_and_b64 s[14:15], s[14:15], s[10:11]
	s_mul_i32 s16, s15, 24
	s_mul_hi_u32 s17, s14, 24
	s_mul_i32 s18, s14, 24
	s_add_i32 s16, s17, s16
	v_mov_b32_e32 v6, s16
	s_waitcnt vmcnt(0)
	v_add_co_u32_e32 v27, vcc, s18, v22
	v_addc_co_u32_e32 v28, vcc, v23, v6, vcc
	s_and_saveexec_b64 s[16:17], s[0:1]
	s_cbranch_execz .LBB16_368
; %bb.367:                              ;   in Loop: Header=BB16_304 Depth=1
	v_mov_b32_e32 v6, s12
	v_mov_b32_e32 v7, s13
	global_store_dwordx4 v[27:28], v[6:9], off offset:8
.LBB16_368:                             ;   in Loop: Header=BB16_304 Depth=1
	s_or_b64 exec, exec, s[16:17]
	s_lshl_b64 s[12:13], s[14:15], 12
	v_mov_b32_e32 v6, s13
	v_add_co_u32_e32 v24, vcc, s12, v24
	v_addc_co_u32_e32 v30, vcc, v25, v6, vcc
	v_cmp_lt_u64_e64 vcc, s[6:7], 57
	s_lshl_b32 s12, s8, 2
	v_cndmask_b32_e32 v6, 0, v29, vcc
	s_add_i32 s12, s12, 28
	v_and_b32_e32 v2, 0xffffff1f, v2
	s_and_b32 s12, s12, 0x1e0
	v_or_b32_e32 v2, v2, v6
	v_or_b32_e32 v2, s12, v2
	v_readfirstlane_b32 s12, v24
	v_readfirstlane_b32 s13, v30
	s_nop 4
	global_store_dwordx4 v31, v[2:5], s[12:13]
	global_store_dwordx4 v31, v[10:13], s[12:13] offset:16
	global_store_dwordx4 v31, v[14:17], s[12:13] offset:32
	;; [unrolled: 1-line block ×3, first 2 shown]
	s_and_saveexec_b64 s[12:13], s[0:1]
	s_cbranch_execz .LBB16_376
; %bb.369:                              ;   in Loop: Header=BB16_304 Depth=1
	global_load_dwordx2 v[12:13], v26, s[2:3] offset:32 glc
	global_load_dwordx2 v[2:3], v26, s[2:3] offset:40
	v_mov_b32_e32 v10, s10
	v_mov_b32_e32 v11, s11
	s_waitcnt vmcnt(0)
	v_readfirstlane_b32 s14, v2
	v_readfirstlane_b32 s15, v3
	s_and_b64 s[14:15], s[14:15], s[10:11]
	s_mul_i32 s15, s15, 24
	s_mul_hi_u32 s16, s14, 24
	s_mul_i32 s14, s14, 24
	s_add_i32 s15, s16, s15
	v_mov_b32_e32 v2, s15
	v_add_co_u32_e32 v6, vcc, s14, v22
	v_addc_co_u32_e32 v7, vcc, v23, v2, vcc
	global_store_dwordx2 v[6:7], v[12:13], off
	s_waitcnt vmcnt(0)
	global_atomic_cmpswap_x2 v[4:5], v26, v[10:13], s[2:3] offset:32 glc
	s_waitcnt vmcnt(0)
	v_cmp_ne_u64_e32 vcc, v[4:5], v[12:13]
	s_and_saveexec_b64 s[14:15], vcc
	s_cbranch_execz .LBB16_372
; %bb.370:                              ;   in Loop: Header=BB16_304 Depth=1
	s_mov_b64 s[16:17], 0
.LBB16_371:                             ;   Parent Loop BB16_304 Depth=1
                                        ; =>  This Inner Loop Header: Depth=2
	s_sleep 1
	global_store_dwordx2 v[6:7], v[4:5], off
	v_mov_b32_e32 v2, s10
	v_mov_b32_e32 v3, s11
	s_waitcnt vmcnt(0)
	global_atomic_cmpswap_x2 v[2:3], v26, v[2:5], s[2:3] offset:32 glc
	s_waitcnt vmcnt(0)
	v_cmp_eq_u64_e32 vcc, v[2:3], v[4:5]
	v_mov_b32_e32 v5, v3
	s_or_b64 s[16:17], vcc, s[16:17]
	v_mov_b32_e32 v4, v2
	s_andn2_b64 exec, exec, s[16:17]
	s_cbranch_execnz .LBB16_371
.LBB16_372:                             ;   in Loop: Header=BB16_304 Depth=1
	s_or_b64 exec, exec, s[14:15]
	global_load_dwordx2 v[2:3], v26, s[2:3] offset:16
	s_mov_b64 s[16:17], exec
	v_mbcnt_lo_u32_b32 v4, s16, 0
	v_mbcnt_hi_u32_b32 v4, s17, v4
	v_cmp_eq_u32_e32 vcc, 0, v4
	s_and_saveexec_b64 s[14:15], vcc
	s_cbranch_execz .LBB16_374
; %bb.373:                              ;   in Loop: Header=BB16_304 Depth=1
	s_bcnt1_i32_b64 s16, s[16:17]
	v_mov_b32_e32 v25, s16
	s_waitcnt vmcnt(0)
	global_atomic_add_x2 v[2:3], v[25:26], off offset:8
.LBB16_374:                             ;   in Loop: Header=BB16_304 Depth=1
	s_or_b64 exec, exec, s[14:15]
	s_waitcnt vmcnt(0)
	global_load_dwordx2 v[4:5], v[2:3], off offset:16
	s_waitcnt vmcnt(0)
	v_cmp_eq_u64_e32 vcc, 0, v[4:5]
	s_cbranch_vccnz .LBB16_376
; %bb.375:                              ;   in Loop: Header=BB16_304 Depth=1
	global_load_dword v25, v[2:3], off offset:24
	s_waitcnt vmcnt(0)
	v_readfirstlane_b32 s14, v25
	s_and_b32 m0, s14, 0xffffff
	global_store_dwordx2 v[4:5], v[25:26], off
	s_sendmsg sendmsg(MSG_INTERRUPT)
.LBB16_376:                             ;   in Loop: Header=BB16_304 Depth=1
	s_or_b64 exec, exec, s[12:13]
	v_add_co_u32_e32 v2, vcc, v24, v31
	v_addc_co_u32_e32 v3, vcc, 0, v30, vcc
	s_branch .LBB16_380
.LBB16_377:                             ;   in Loop: Header=BB16_380 Depth=2
	s_or_b64 exec, exec, s[12:13]
	v_readfirstlane_b32 s12, v4
	s_cmp_eq_u32 s12, 0
	s_cbranch_scc1 .LBB16_379
; %bb.378:                              ;   in Loop: Header=BB16_380 Depth=2
	s_sleep 1
	s_cbranch_execnz .LBB16_380
	s_branch .LBB16_382
.LBB16_379:                             ;   in Loop: Header=BB16_304 Depth=1
	s_branch .LBB16_382
.LBB16_380:                             ;   Parent Loop BB16_304 Depth=1
                                        ; =>  This Inner Loop Header: Depth=2
	v_mov_b32_e32 v4, 1
	s_and_saveexec_b64 s[12:13], s[0:1]
	s_cbranch_execz .LBB16_377
; %bb.381:                              ;   in Loop: Header=BB16_380 Depth=2
	global_load_dword v4, v[27:28], off offset:20 glc
	s_waitcnt vmcnt(0)
	buffer_wbinvl1_vol
	v_and_b32_e32 v4, 1, v4
	s_branch .LBB16_377
.LBB16_382:                             ;   in Loop: Header=BB16_304 Depth=1
	global_load_dwordx2 v[2:3], v[2:3], off
	s_and_saveexec_b64 s[12:13], s[0:1]
	s_cbranch_execz .LBB16_303
; %bb.383:                              ;   in Loop: Header=BB16_304 Depth=1
	global_load_dwordx2 v[4:5], v26, s[2:3] offset:40
	global_load_dwordx2 v[14:15], v26, s[2:3] offset:24 glc
	global_load_dwordx2 v[6:7], v26, s[2:3]
	s_waitcnt vmcnt(2)
	v_readfirstlane_b32 s14, v4
	v_readfirstlane_b32 s15, v5
	s_add_u32 s16, s14, 1
	s_addc_u32 s17, s15, 0
	s_add_u32 s0, s16, s10
	s_addc_u32 s1, s17, s11
	s_cmp_eq_u64 s[0:1], 0
	s_cselect_b32 s1, s17, s1
	s_cselect_b32 s0, s16, s0
	s_and_b64 s[10:11], s[0:1], s[14:15]
	s_mul_i32 s11, s11, 24
	s_mul_hi_u32 s14, s10, 24
	s_mul_i32 s10, s10, 24
	s_add_i32 s11, s14, s11
	v_mov_b32_e32 v4, s11
	s_waitcnt vmcnt(0)
	v_add_co_u32_e32 v10, vcc, s10, v6
	v_addc_co_u32_e32 v11, vcc, v7, v4, vcc
	v_mov_b32_e32 v12, s0
	global_store_dwordx2 v[10:11], v[14:15], off
	v_mov_b32_e32 v13, s1
	s_waitcnt vmcnt(0)
	global_atomic_cmpswap_x2 v[6:7], v26, v[12:15], s[2:3] offset:24 glc
	s_waitcnt vmcnt(0)
	v_cmp_ne_u64_e32 vcc, v[6:7], v[14:15]
	s_and_b64 exec, exec, vcc
	s_cbranch_execz .LBB16_303
; %bb.384:                              ;   in Loop: Header=BB16_304 Depth=1
	s_mov_b64 s[10:11], 0
.LBB16_385:                             ;   Parent Loop BB16_304 Depth=1
                                        ; =>  This Inner Loop Header: Depth=2
	s_sleep 1
	global_store_dwordx2 v[10:11], v[6:7], off
	v_mov_b32_e32 v4, s0
	v_mov_b32_e32 v5, s1
	s_waitcnt vmcnt(0)
	global_atomic_cmpswap_x2 v[4:5], v26, v[4:7], s[2:3] offset:24 glc
	s_waitcnt vmcnt(0)
	v_cmp_eq_u64_e32 vcc, v[4:5], v[6:7]
	v_mov_b32_e32 v7, v5
	s_or_b64 s[10:11], vcc, s[10:11]
	v_mov_b32_e32 v6, v4
	s_andn2_b64 exec, exec, s[10:11]
	s_cbranch_execnz .LBB16_385
	s_branch .LBB16_303
.LBB16_386:
	s_mov_b64 s[0:1], -1
                                        ; implicit-def: $vgpr2_vgpr3
	s_branch .LBB16_388
.LBB16_387:
	s_mov_b64 s[0:1], 0
.LBB16_388:
	s_and_b64 vcc, exec, s[0:1]
	s_cbranch_vccz .LBB16_415
; %bb.389:
	v_readfirstlane_b32 s0, v32
	v_mov_b32_e32 v8, 0
	v_mov_b32_e32 v9, 0
	v_cmp_eq_u32_e64 s[0:1], s0, v32
	s_and_saveexec_b64 s[4:5], s[0:1]
	s_cbranch_execz .LBB16_395
; %bb.390:
	s_waitcnt vmcnt(0)
	v_mov_b32_e32 v2, 0
	global_load_dwordx2 v[5:6], v2, s[2:3] offset:24 glc
	s_waitcnt vmcnt(0)
	buffer_wbinvl1_vol
	global_load_dwordx2 v[3:4], v2, s[2:3] offset:40
	global_load_dwordx2 v[7:8], v2, s[2:3]
	s_waitcnt vmcnt(1)
	v_and_b32_e32 v3, v3, v5
	v_and_b32_e32 v4, v4, v6
	v_mul_lo_u32 v4, v4, 24
	v_mul_hi_u32 v9, v3, 24
	v_mul_lo_u32 v3, v3, 24
	v_add_u32_e32 v4, v9, v4
	s_waitcnt vmcnt(0)
	v_add_co_u32_e32 v3, vcc, v7, v3
	v_addc_co_u32_e32 v4, vcc, v8, v4, vcc
	global_load_dwordx2 v[3:4], v[3:4], off glc
	s_waitcnt vmcnt(0)
	global_atomic_cmpswap_x2 v[8:9], v2, v[3:6], s[2:3] offset:24 glc
	s_waitcnt vmcnt(0)
	buffer_wbinvl1_vol
	v_cmp_ne_u64_e32 vcc, v[8:9], v[5:6]
	s_and_saveexec_b64 s[6:7], vcc
	s_cbranch_execz .LBB16_394
; %bb.391:
	s_mov_b64 s[8:9], 0
.LBB16_392:                             ; =>This Inner Loop Header: Depth=1
	s_sleep 1
	global_load_dwordx2 v[3:4], v2, s[2:3] offset:40
	global_load_dwordx2 v[10:11], v2, s[2:3]
	v_mov_b32_e32 v5, v8
	v_mov_b32_e32 v6, v9
	s_waitcnt vmcnt(1)
	v_and_b32_e32 v3, v3, v5
	s_waitcnt vmcnt(0)
	v_mad_u64_u32 v[7:8], s[10:11], v3, 24, v[10:11]
	v_and_b32_e32 v4, v4, v6
	v_mov_b32_e32 v3, v8
	v_mad_u64_u32 v[3:4], s[10:11], v4, 24, v[3:4]
	v_mov_b32_e32 v8, v3
	global_load_dwordx2 v[3:4], v[7:8], off glc
	s_waitcnt vmcnt(0)
	global_atomic_cmpswap_x2 v[8:9], v2, v[3:6], s[2:3] offset:24 glc
	s_waitcnt vmcnt(0)
	buffer_wbinvl1_vol
	v_cmp_eq_u64_e32 vcc, v[8:9], v[5:6]
	s_or_b64 s[8:9], vcc, s[8:9]
	s_andn2_b64 exec, exec, s[8:9]
	s_cbranch_execnz .LBB16_392
; %bb.393:
	s_or_b64 exec, exec, s[8:9]
.LBB16_394:
	s_or_b64 exec, exec, s[6:7]
.LBB16_395:
	s_or_b64 exec, exec, s[4:5]
	s_waitcnt vmcnt(0)
	v_mov_b32_e32 v2, 0
	global_load_dwordx2 v[10:11], v2, s[2:3] offset:40
	global_load_dwordx4 v[4:7], v2, s[2:3]
	v_readfirstlane_b32 s5, v9
	v_readfirstlane_b32 s4, v8
	s_mov_b64 s[6:7], exec
	s_waitcnt vmcnt(1)
	v_readfirstlane_b32 s8, v10
	v_readfirstlane_b32 s9, v11
	s_and_b64 s[8:9], s[8:9], s[4:5]
	s_mul_i32 s10, s9, 24
	s_mul_hi_u32 s11, s8, 24
	s_mul_i32 s12, s8, 24
	s_add_i32 s10, s11, s10
	v_mov_b32_e32 v3, s10
	s_waitcnt vmcnt(0)
	v_add_co_u32_e32 v8, vcc, s12, v4
	v_addc_co_u32_e32 v9, vcc, v5, v3, vcc
	s_and_saveexec_b64 s[10:11], s[0:1]
	s_cbranch_execz .LBB16_397
; %bb.396:
	v_mov_b32_e32 v11, s7
	v_mov_b32_e32 v10, s6
	;; [unrolled: 1-line block ×4, first 2 shown]
	global_store_dwordx4 v[8:9], v[10:13], off offset:8
.LBB16_397:
	s_or_b64 exec, exec, s[10:11]
	s_lshl_b64 s[6:7], s[8:9], 12
	v_mov_b32_e32 v3, s7
	v_add_co_u32_e32 v10, vcc, s6, v6
	v_addc_co_u32_e32 v11, vcc, v7, v3, vcc
	s_movk_i32 s6, 0xff1f
	v_and_or_b32 v0, v0, s6, 32
	s_mov_b32 s8, 0
	v_mov_b32_e32 v3, v2
	v_readfirstlane_b32 s6, v10
	v_readfirstlane_b32 s7, v11
	v_add_co_u32_e32 v6, vcc, v10, v31
	s_mov_b32 s9, s8
	s_mov_b32 s10, s8
	;; [unrolled: 1-line block ×3, first 2 shown]
	s_nop 0
	global_store_dwordx4 v31, v[0:3], s[6:7]
	v_addc_co_u32_e32 v7, vcc, 0, v11, vcc
	v_mov_b32_e32 v0, s8
	v_mov_b32_e32 v1, s9
	v_mov_b32_e32 v2, s10
	v_mov_b32_e32 v3, s11
	global_store_dwordx4 v31, v[0:3], s[6:7] offset:16
	global_store_dwordx4 v31, v[0:3], s[6:7] offset:32
	;; [unrolled: 1-line block ×3, first 2 shown]
	s_and_saveexec_b64 s[6:7], s[0:1]
	s_cbranch_execz .LBB16_405
; %bb.398:
	v_mov_b32_e32 v10, 0
	global_load_dwordx2 v[13:14], v10, s[2:3] offset:32 glc
	global_load_dwordx2 v[0:1], v10, s[2:3] offset:40
	v_mov_b32_e32 v11, s4
	v_mov_b32_e32 v12, s5
	s_waitcnt vmcnt(0)
	v_readfirstlane_b32 s8, v0
	v_readfirstlane_b32 s9, v1
	s_and_b64 s[8:9], s[8:9], s[4:5]
	s_mul_i32 s9, s9, 24
	s_mul_hi_u32 s10, s8, 24
	s_mul_i32 s8, s8, 24
	s_add_i32 s9, s10, s9
	v_mov_b32_e32 v0, s9
	v_add_co_u32_e32 v4, vcc, s8, v4
	v_addc_co_u32_e32 v5, vcc, v5, v0, vcc
	global_store_dwordx2 v[4:5], v[13:14], off
	s_waitcnt vmcnt(0)
	global_atomic_cmpswap_x2 v[2:3], v10, v[11:14], s[2:3] offset:32 glc
	s_waitcnt vmcnt(0)
	v_cmp_ne_u64_e32 vcc, v[2:3], v[13:14]
	s_and_saveexec_b64 s[8:9], vcc
	s_cbranch_execz .LBB16_401
; %bb.399:
	s_mov_b64 s[10:11], 0
.LBB16_400:                             ; =>This Inner Loop Header: Depth=1
	s_sleep 1
	global_store_dwordx2 v[4:5], v[2:3], off
	v_mov_b32_e32 v0, s4
	v_mov_b32_e32 v1, s5
	s_waitcnt vmcnt(0)
	global_atomic_cmpswap_x2 v[0:1], v10, v[0:3], s[2:3] offset:32 glc
	s_waitcnt vmcnt(0)
	v_cmp_eq_u64_e32 vcc, v[0:1], v[2:3]
	v_mov_b32_e32 v3, v1
	s_or_b64 s[10:11], vcc, s[10:11]
	v_mov_b32_e32 v2, v0
	s_andn2_b64 exec, exec, s[10:11]
	s_cbranch_execnz .LBB16_400
.LBB16_401:
	s_or_b64 exec, exec, s[8:9]
	v_mov_b32_e32 v3, 0
	global_load_dwordx2 v[0:1], v3, s[2:3] offset:16
	s_mov_b64 s[8:9], exec
	v_mbcnt_lo_u32_b32 v2, s8, 0
	v_mbcnt_hi_u32_b32 v2, s9, v2
	v_cmp_eq_u32_e32 vcc, 0, v2
	s_and_saveexec_b64 s[10:11], vcc
	s_cbranch_execz .LBB16_403
; %bb.402:
	s_bcnt1_i32_b64 s8, s[8:9]
	v_mov_b32_e32 v2, s8
	s_waitcnt vmcnt(0)
	global_atomic_add_x2 v[0:1], v[2:3], off offset:8
.LBB16_403:
	s_or_b64 exec, exec, s[10:11]
	s_waitcnt vmcnt(0)
	global_load_dwordx2 v[2:3], v[0:1], off offset:16
	s_waitcnt vmcnt(0)
	v_cmp_eq_u64_e32 vcc, 0, v[2:3]
	s_cbranch_vccnz .LBB16_405
; %bb.404:
	global_load_dword v0, v[0:1], off offset:24
	v_mov_b32_e32 v1, 0
	s_waitcnt vmcnt(0)
	v_readfirstlane_b32 s8, v0
	s_and_b32 m0, s8, 0xffffff
	global_store_dwordx2 v[2:3], v[0:1], off
	s_sendmsg sendmsg(MSG_INTERRUPT)
.LBB16_405:
	s_or_b64 exec, exec, s[6:7]
	s_branch .LBB16_409
.LBB16_406:                             ;   in Loop: Header=BB16_409 Depth=1
	s_or_b64 exec, exec, s[6:7]
	v_readfirstlane_b32 s6, v0
	s_cmp_eq_u32 s6, 0
	s_cbranch_scc1 .LBB16_408
; %bb.407:                              ;   in Loop: Header=BB16_409 Depth=1
	s_sleep 1
	s_cbranch_execnz .LBB16_409
	s_branch .LBB16_411
.LBB16_408:
	s_branch .LBB16_411
.LBB16_409:                             ; =>This Inner Loop Header: Depth=1
	v_mov_b32_e32 v0, 1
	s_and_saveexec_b64 s[6:7], s[0:1]
	s_cbranch_execz .LBB16_406
; %bb.410:                              ;   in Loop: Header=BB16_409 Depth=1
	global_load_dword v0, v[8:9], off offset:20 glc
	s_waitcnt vmcnt(0)
	buffer_wbinvl1_vol
	v_and_b32_e32 v0, 1, v0
	s_branch .LBB16_406
.LBB16_411:
	global_load_dwordx2 v[2:3], v[6:7], off
	s_and_saveexec_b64 s[6:7], s[0:1]
	s_cbranch_execz .LBB16_414
; %bb.412:
	v_mov_b32_e32 v8, 0
	global_load_dwordx2 v[0:1], v8, s[2:3] offset:40
	global_load_dwordx2 v[11:12], v8, s[2:3] offset:24 glc
	global_load_dwordx2 v[4:5], v8, s[2:3]
	s_waitcnt vmcnt(2)
	v_readfirstlane_b32 s8, v0
	v_readfirstlane_b32 s9, v1
	s_add_u32 s10, s8, 1
	s_addc_u32 s11, s9, 0
	s_add_u32 s0, s10, s4
	s_addc_u32 s1, s11, s5
	s_cmp_eq_u64 s[0:1], 0
	s_cselect_b32 s1, s11, s1
	s_cselect_b32 s0, s10, s0
	s_and_b64 s[4:5], s[0:1], s[8:9]
	s_mul_i32 s5, s5, 24
	s_mul_hi_u32 s8, s4, 24
	s_mul_i32 s4, s4, 24
	s_add_i32 s5, s8, s5
	v_mov_b32_e32 v1, s5
	s_waitcnt vmcnt(0)
	v_add_co_u32_e32 v0, vcc, s4, v4
	v_addc_co_u32_e32 v1, vcc, v5, v1, vcc
	v_mov_b32_e32 v9, s0
	global_store_dwordx2 v[0:1], v[11:12], off
	v_mov_b32_e32 v10, s1
	s_waitcnt vmcnt(0)
	global_atomic_cmpswap_x2 v[6:7], v8, v[9:12], s[2:3] offset:24 glc
	s_mov_b64 s[4:5], 0
	s_waitcnt vmcnt(0)
	v_cmp_ne_u64_e32 vcc, v[6:7], v[11:12]
	s_and_b64 exec, exec, vcc
	s_cbranch_execz .LBB16_414
.LBB16_413:                             ; =>This Inner Loop Header: Depth=1
	s_sleep 1
	global_store_dwordx2 v[0:1], v[6:7], off
	v_mov_b32_e32 v4, s0
	v_mov_b32_e32 v5, s1
	s_waitcnt vmcnt(0)
	global_atomic_cmpswap_x2 v[4:5], v8, v[4:7], s[2:3] offset:24 glc
	s_waitcnt vmcnt(0)
	v_cmp_eq_u64_e32 vcc, v[4:5], v[6:7]
	v_mov_b32_e32 v7, v5
	s_or_b64 s[4:5], vcc, s[4:5]
	v_mov_b32_e32 v6, v4
	s_andn2_b64 exec, exec, s[4:5]
	s_cbranch_execnz .LBB16_413
.LBB16_414:
	s_or_b64 exec, exec, s[6:7]
.LBB16_415:
	v_readfirstlane_b32 s0, v32
	s_waitcnt vmcnt(0)
	v_mov_b32_e32 v0, 0
	v_mov_b32_e32 v1, 0
	v_cmp_eq_u32_e64 s[0:1], s0, v32
	s_and_saveexec_b64 s[4:5], s[0:1]
	s_cbranch_execz .LBB16_421
; %bb.416:
	v_mov_b32_e32 v4, 0
	global_load_dwordx2 v[7:8], v4, s[2:3] offset:24 glc
	s_waitcnt vmcnt(0)
	buffer_wbinvl1_vol
	global_load_dwordx2 v[0:1], v4, s[2:3] offset:40
	global_load_dwordx2 v[5:6], v4, s[2:3]
	s_waitcnt vmcnt(1)
	v_and_b32_e32 v0, v0, v7
	v_and_b32_e32 v1, v1, v8
	v_mul_lo_u32 v1, v1, 24
	v_mul_hi_u32 v9, v0, 24
	v_mul_lo_u32 v0, v0, 24
	v_add_u32_e32 v1, v9, v1
	s_waitcnt vmcnt(0)
	v_add_co_u32_e32 v0, vcc, v5, v0
	v_addc_co_u32_e32 v1, vcc, v6, v1, vcc
	global_load_dwordx2 v[5:6], v[0:1], off glc
	s_waitcnt vmcnt(0)
	global_atomic_cmpswap_x2 v[0:1], v4, v[5:8], s[2:3] offset:24 glc
	s_waitcnt vmcnt(0)
	buffer_wbinvl1_vol
	v_cmp_ne_u64_e32 vcc, v[0:1], v[7:8]
	s_and_saveexec_b64 s[6:7], vcc
	s_cbranch_execz .LBB16_420
; %bb.417:
	s_mov_b64 s[8:9], 0
.LBB16_418:                             ; =>This Inner Loop Header: Depth=1
	s_sleep 1
	global_load_dwordx2 v[5:6], v4, s[2:3] offset:40
	global_load_dwordx2 v[9:10], v4, s[2:3]
	v_mov_b32_e32 v8, v1
	v_mov_b32_e32 v7, v0
	s_waitcnt vmcnt(1)
	v_and_b32_e32 v0, v5, v7
	s_waitcnt vmcnt(0)
	v_mad_u64_u32 v[0:1], s[10:11], v0, 24, v[9:10]
	v_and_b32_e32 v5, v6, v8
	v_mad_u64_u32 v[5:6], s[10:11], v5, 24, v[1:2]
	v_mov_b32_e32 v1, v5
	global_load_dwordx2 v[5:6], v[0:1], off glc
	s_waitcnt vmcnt(0)
	global_atomic_cmpswap_x2 v[0:1], v4, v[5:8], s[2:3] offset:24 glc
	s_waitcnt vmcnt(0)
	buffer_wbinvl1_vol
	v_cmp_eq_u64_e32 vcc, v[0:1], v[7:8]
	s_or_b64 s[8:9], vcc, s[8:9]
	s_andn2_b64 exec, exec, s[8:9]
	s_cbranch_execnz .LBB16_418
; %bb.419:
	s_or_b64 exec, exec, s[8:9]
.LBB16_420:
	s_or_b64 exec, exec, s[6:7]
.LBB16_421:
	s_or_b64 exec, exec, s[4:5]
	v_mov_b32_e32 v5, 0
	global_load_dwordx2 v[10:11], v5, s[2:3] offset:40
	global_load_dwordx4 v[6:9], v5, s[2:3]
	v_readfirstlane_b32 s5, v1
	v_readfirstlane_b32 s4, v0
	s_mov_b64 s[6:7], exec
	s_waitcnt vmcnt(1)
	v_readfirstlane_b32 s8, v10
	v_readfirstlane_b32 s9, v11
	s_and_b64 s[8:9], s[8:9], s[4:5]
	s_mul_i32 s10, s9, 24
	s_mul_hi_u32 s11, s8, 24
	s_mul_i32 s12, s8, 24
	s_add_i32 s10, s11, s10
	v_mov_b32_e32 v0, s10
	s_waitcnt vmcnt(0)
	v_add_co_u32_e32 v10, vcc, s12, v6
	v_addc_co_u32_e32 v11, vcc, v7, v0, vcc
	s_and_saveexec_b64 s[10:11], s[0:1]
	s_cbranch_execz .LBB16_423
; %bb.422:
	v_mov_b32_e32 v13, s7
	v_mov_b32_e32 v12, s6
	;; [unrolled: 1-line block ×4, first 2 shown]
	global_store_dwordx4 v[10:11], v[12:15], off offset:8
.LBB16_423:
	s_or_b64 exec, exec, s[10:11]
	s_lshl_b64 s[6:7], s[8:9], 12
	v_mov_b32_e32 v0, s7
	v_add_co_u32_e32 v1, vcc, s6, v8
	v_addc_co_u32_e32 v0, vcc, v9, v0, vcc
	s_movk_i32 s6, 0xff1d
	v_and_or_b32 v2, v2, s6, 34
	s_mov_b32 s8, 0
	v_mov_b32_e32 v4, 0x7c
	v_readfirstlane_b32 s6, v1
	v_readfirstlane_b32 s7, v0
	s_mov_b32 s9, s8
	s_mov_b32 s10, s8
	;; [unrolled: 1-line block ×3, first 2 shown]
	s_nop 1
	global_store_dwordx4 v31, v[2:5], s[6:7]
	v_mov_b32_e32 v0, s8
	v_mov_b32_e32 v1, s9
	;; [unrolled: 1-line block ×4, first 2 shown]
	global_store_dwordx4 v31, v[0:3], s[6:7] offset:16
	global_store_dwordx4 v31, v[0:3], s[6:7] offset:32
	;; [unrolled: 1-line block ×3, first 2 shown]
	s_and_saveexec_b64 s[6:7], s[0:1]
	s_cbranch_execz .LBB16_431
; %bb.424:
	v_mov_b32_e32 v8, 0
	global_load_dwordx2 v[14:15], v8, s[2:3] offset:32 glc
	global_load_dwordx2 v[0:1], v8, s[2:3] offset:40
	v_mov_b32_e32 v12, s4
	v_mov_b32_e32 v13, s5
	s_waitcnt vmcnt(0)
	v_readfirstlane_b32 s8, v0
	v_readfirstlane_b32 s9, v1
	s_and_b64 s[8:9], s[8:9], s[4:5]
	s_mul_i32 s9, s9, 24
	s_mul_hi_u32 s10, s8, 24
	s_mul_i32 s8, s8, 24
	s_add_i32 s9, s10, s9
	v_mov_b32_e32 v0, s9
	v_add_co_u32_e32 v4, vcc, s8, v6
	v_addc_co_u32_e32 v5, vcc, v7, v0, vcc
	global_store_dwordx2 v[4:5], v[14:15], off
	s_waitcnt vmcnt(0)
	global_atomic_cmpswap_x2 v[2:3], v8, v[12:15], s[2:3] offset:32 glc
	s_waitcnt vmcnt(0)
	v_cmp_ne_u64_e32 vcc, v[2:3], v[14:15]
	s_and_saveexec_b64 s[8:9], vcc
	s_cbranch_execz .LBB16_427
; %bb.425:
	s_mov_b64 s[10:11], 0
.LBB16_426:                             ; =>This Inner Loop Header: Depth=1
	s_sleep 1
	global_store_dwordx2 v[4:5], v[2:3], off
	v_mov_b32_e32 v0, s4
	v_mov_b32_e32 v1, s5
	s_waitcnt vmcnt(0)
	global_atomic_cmpswap_x2 v[0:1], v8, v[0:3], s[2:3] offset:32 glc
	s_waitcnt vmcnt(0)
	v_cmp_eq_u64_e32 vcc, v[0:1], v[2:3]
	v_mov_b32_e32 v3, v1
	s_or_b64 s[10:11], vcc, s[10:11]
	v_mov_b32_e32 v2, v0
	s_andn2_b64 exec, exec, s[10:11]
	s_cbranch_execnz .LBB16_426
.LBB16_427:
	s_or_b64 exec, exec, s[8:9]
	v_mov_b32_e32 v3, 0
	global_load_dwordx2 v[0:1], v3, s[2:3] offset:16
	s_mov_b64 s[8:9], exec
	v_mbcnt_lo_u32_b32 v2, s8, 0
	v_mbcnt_hi_u32_b32 v2, s9, v2
	v_cmp_eq_u32_e32 vcc, 0, v2
	s_and_saveexec_b64 s[10:11], vcc
	s_cbranch_execz .LBB16_429
; %bb.428:
	s_bcnt1_i32_b64 s8, s[8:9]
	v_mov_b32_e32 v2, s8
	s_waitcnt vmcnt(0)
	global_atomic_add_x2 v[0:1], v[2:3], off offset:8
.LBB16_429:
	s_or_b64 exec, exec, s[10:11]
	s_waitcnt vmcnt(0)
	global_load_dwordx2 v[2:3], v[0:1], off offset:16
	s_waitcnt vmcnt(0)
	v_cmp_eq_u64_e32 vcc, 0, v[2:3]
	s_cbranch_vccnz .LBB16_431
; %bb.430:
	global_load_dword v0, v[0:1], off offset:24
	v_mov_b32_e32 v1, 0
	s_waitcnt vmcnt(0)
	v_readfirstlane_b32 s8, v0
	s_and_b32 m0, s8, 0xffffff
	global_store_dwordx2 v[2:3], v[0:1], off
	s_sendmsg sendmsg(MSG_INTERRUPT)
.LBB16_431:
	s_or_b64 exec, exec, s[6:7]
	s_branch .LBB16_435
.LBB16_432:                             ;   in Loop: Header=BB16_435 Depth=1
	s_or_b64 exec, exec, s[6:7]
	v_readfirstlane_b32 s6, v0
	s_cmp_eq_u32 s6, 0
	s_cbranch_scc1 .LBB16_434
; %bb.433:                              ;   in Loop: Header=BB16_435 Depth=1
	s_sleep 1
	s_cbranch_execnz .LBB16_435
	s_branch .LBB16_437
.LBB16_434:
	s_branch .LBB16_437
.LBB16_435:                             ; =>This Inner Loop Header: Depth=1
	v_mov_b32_e32 v0, 1
	s_and_saveexec_b64 s[6:7], s[0:1]
	s_cbranch_execz .LBB16_432
; %bb.436:                              ;   in Loop: Header=BB16_435 Depth=1
	global_load_dword v0, v[10:11], off offset:20 glc
	s_waitcnt vmcnt(0)
	buffer_wbinvl1_vol
	v_and_b32_e32 v0, 1, v0
	s_branch .LBB16_432
.LBB16_437:
	s_and_saveexec_b64 s[6:7], s[0:1]
	s_cbranch_execz .LBB16_440
; %bb.438:
	v_mov_b32_e32 v6, 0
	global_load_dwordx2 v[0:1], v6, s[2:3] offset:40
	global_load_dwordx2 v[9:10], v6, s[2:3] offset:24 glc
	global_load_dwordx2 v[2:3], v6, s[2:3]
	s_waitcnt vmcnt(2)
	v_readfirstlane_b32 s8, v0
	v_readfirstlane_b32 s9, v1
	s_add_u32 s10, s8, 1
	s_addc_u32 s11, s9, 0
	s_add_u32 s0, s10, s4
	s_addc_u32 s1, s11, s5
	s_cmp_eq_u64 s[0:1], 0
	s_cselect_b32 s1, s11, s1
	s_cselect_b32 s0, s10, s0
	s_and_b64 s[4:5], s[0:1], s[8:9]
	s_mul_i32 s5, s5, 24
	s_mul_hi_u32 s8, s4, 24
	s_mul_i32 s4, s4, 24
	s_add_i32 s5, s8, s5
	v_mov_b32_e32 v0, s5
	s_waitcnt vmcnt(0)
	v_add_co_u32_e32 v4, vcc, s4, v2
	v_addc_co_u32_e32 v5, vcc, v3, v0, vcc
	v_mov_b32_e32 v7, s0
	global_store_dwordx2 v[4:5], v[9:10], off
	v_mov_b32_e32 v8, s1
	s_waitcnt vmcnt(0)
	global_atomic_cmpswap_x2 v[2:3], v6, v[7:10], s[2:3] offset:24 glc
	s_mov_b64 s[4:5], 0
	s_waitcnt vmcnt(0)
	v_cmp_ne_u64_e32 vcc, v[2:3], v[9:10]
	s_and_b64 exec, exec, vcc
	s_cbranch_execz .LBB16_440
.LBB16_439:                             ; =>This Inner Loop Header: Depth=1
	s_sleep 1
	global_store_dwordx2 v[4:5], v[2:3], off
	v_mov_b32_e32 v0, s0
	v_mov_b32_e32 v1, s1
	s_waitcnt vmcnt(0)
	global_atomic_cmpswap_x2 v[0:1], v6, v[0:3], s[2:3] offset:24 glc
	s_waitcnt vmcnt(0)
	v_cmp_eq_u64_e32 vcc, v[0:1], v[2:3]
	v_mov_b32_e32 v3, v1
	s_or_b64 s[4:5], vcc, s[4:5]
	v_mov_b32_e32 v2, v0
	s_andn2_b64 exec, exec, s[4:5]
	s_cbranch_execnz .LBB16_439
.LBB16_440:
	s_or_b64 exec, exec, s[6:7]
	s_trap 2
	; divergent unreachable
	s_endpgm
	.section	.rodata,"a",@progbits
	.p2align	6, 0x0
	.amdhsa_kernel _ZN9rocsparseL38csr2csr_compress_use_warp_start_deviceILj256ELj64ELj2E21rocsparse_complex_numIdEEEvi21rocsparse_index_base_PKT2_PKiS3_PS4_PiPKjS4_
		.amdhsa_group_segment_fixed_size 0
		.amdhsa_private_segment_fixed_size 0
		.amdhsa_kernarg_size 328
		.amdhsa_user_sgpr_count 6
		.amdhsa_user_sgpr_private_segment_buffer 1
		.amdhsa_user_sgpr_dispatch_ptr 0
		.amdhsa_user_sgpr_queue_ptr 0
		.amdhsa_user_sgpr_kernarg_segment_ptr 1
		.amdhsa_user_sgpr_dispatch_id 0
		.amdhsa_user_sgpr_flat_scratch_init 0
		.amdhsa_user_sgpr_private_segment_size 0
		.amdhsa_uses_dynamic_stack 0
		.amdhsa_system_sgpr_private_segment_wavefront_offset 0
		.amdhsa_system_sgpr_workgroup_id_x 1
		.amdhsa_system_sgpr_workgroup_id_y 0
		.amdhsa_system_sgpr_workgroup_id_z 0
		.amdhsa_system_sgpr_workgroup_info 0
		.amdhsa_system_vgpr_workitem_id 0
		.amdhsa_next_free_vgpr 34
		.amdhsa_next_free_sgpr 29
		.amdhsa_reserve_vcc 1
		.amdhsa_reserve_flat_scratch 0
		.amdhsa_float_round_mode_32 0
		.amdhsa_float_round_mode_16_64 0
		.amdhsa_float_denorm_mode_32 3
		.amdhsa_float_denorm_mode_16_64 3
		.amdhsa_dx10_clamp 1
		.amdhsa_ieee_mode 1
		.amdhsa_fp16_overflow 0
		.amdhsa_exception_fp_ieee_invalid_op 0
		.amdhsa_exception_fp_denorm_src 0
		.amdhsa_exception_fp_ieee_div_zero 0
		.amdhsa_exception_fp_ieee_overflow 0
		.amdhsa_exception_fp_ieee_underflow 0
		.amdhsa_exception_fp_ieee_inexact 0
		.amdhsa_exception_int_div_zero 0
	.end_amdhsa_kernel
	.section	.text._ZN9rocsparseL38csr2csr_compress_use_warp_start_deviceILj256ELj64ELj2E21rocsparse_complex_numIdEEEvi21rocsparse_index_base_PKT2_PKiS3_PS4_PiPKjS4_,"axG",@progbits,_ZN9rocsparseL38csr2csr_compress_use_warp_start_deviceILj256ELj64ELj2E21rocsparse_complex_numIdEEEvi21rocsparse_index_base_PKT2_PKiS3_PS4_PiPKjS4_,comdat
.Lfunc_end16:
	.size	_ZN9rocsparseL38csr2csr_compress_use_warp_start_deviceILj256ELj64ELj2E21rocsparse_complex_numIdEEEvi21rocsparse_index_base_PKT2_PKiS3_PS4_PiPKjS4_, .Lfunc_end16-_ZN9rocsparseL38csr2csr_compress_use_warp_start_deviceILj256ELj64ELj2E21rocsparse_complex_numIdEEEvi21rocsparse_index_base_PKT2_PKiS3_PS4_PiPKjS4_
                                        ; -- End function
	.set _ZN9rocsparseL38csr2csr_compress_use_warp_start_deviceILj256ELj64ELj2E21rocsparse_complex_numIdEEEvi21rocsparse_index_base_PKT2_PKiS3_PS4_PiPKjS4_.num_vgpr, 34
	.set _ZN9rocsparseL38csr2csr_compress_use_warp_start_deviceILj256ELj64ELj2E21rocsparse_complex_numIdEEEvi21rocsparse_index_base_PKT2_PKiS3_PS4_PiPKjS4_.num_agpr, 0
	.set _ZN9rocsparseL38csr2csr_compress_use_warp_start_deviceILj256ELj64ELj2E21rocsparse_complex_numIdEEEvi21rocsparse_index_base_PKT2_PKiS3_PS4_PiPKjS4_.numbered_sgpr, 29
	.set _ZN9rocsparseL38csr2csr_compress_use_warp_start_deviceILj256ELj64ELj2E21rocsparse_complex_numIdEEEvi21rocsparse_index_base_PKT2_PKiS3_PS4_PiPKjS4_.num_named_barrier, 0
	.set _ZN9rocsparseL38csr2csr_compress_use_warp_start_deviceILj256ELj64ELj2E21rocsparse_complex_numIdEEEvi21rocsparse_index_base_PKT2_PKiS3_PS4_PiPKjS4_.private_seg_size, 0
	.set _ZN9rocsparseL38csr2csr_compress_use_warp_start_deviceILj256ELj64ELj2E21rocsparse_complex_numIdEEEvi21rocsparse_index_base_PKT2_PKiS3_PS4_PiPKjS4_.uses_vcc, 1
	.set _ZN9rocsparseL38csr2csr_compress_use_warp_start_deviceILj256ELj64ELj2E21rocsparse_complex_numIdEEEvi21rocsparse_index_base_PKT2_PKiS3_PS4_PiPKjS4_.uses_flat_scratch, 0
	.set _ZN9rocsparseL38csr2csr_compress_use_warp_start_deviceILj256ELj64ELj2E21rocsparse_complex_numIdEEEvi21rocsparse_index_base_PKT2_PKiS3_PS4_PiPKjS4_.has_dyn_sized_stack, 0
	.set _ZN9rocsparseL38csr2csr_compress_use_warp_start_deviceILj256ELj64ELj2E21rocsparse_complex_numIdEEEvi21rocsparse_index_base_PKT2_PKiS3_PS4_PiPKjS4_.has_recursion, 0
	.set _ZN9rocsparseL38csr2csr_compress_use_warp_start_deviceILj256ELj64ELj2E21rocsparse_complex_numIdEEEvi21rocsparse_index_base_PKT2_PKiS3_PS4_PiPKjS4_.has_indirect_call, 0
	.section	.AMDGPU.csdata,"",@progbits
; Kernel info:
; codeLenInByte = 15924
; TotalNumSgprs: 33
; NumVgprs: 34
; ScratchSize: 0
; MemoryBound: 0
; FloatMode: 240
; IeeeMode: 1
; LDSByteSize: 0 bytes/workgroup (compile time only)
; SGPRBlocks: 4
; VGPRBlocks: 8
; NumSGPRsForWavesPerEU: 33
; NumVGPRsForWavesPerEU: 34
; Occupancy: 7
; WaveLimiterHint : 1
; COMPUTE_PGM_RSRC2:SCRATCH_EN: 0
; COMPUTE_PGM_RSRC2:USER_SGPR: 6
; COMPUTE_PGM_RSRC2:TRAP_HANDLER: 0
; COMPUTE_PGM_RSRC2:TGID_X_EN: 1
; COMPUTE_PGM_RSRC2:TGID_Y_EN: 0
; COMPUTE_PGM_RSRC2:TGID_Z_EN: 0
; COMPUTE_PGM_RSRC2:TIDIG_COMP_CNT: 0
	.section	.AMDGPU.gpr_maximums,"",@progbits
	.set amdgpu.max_num_vgpr, 0
	.set amdgpu.max_num_agpr, 0
	.set amdgpu.max_num_sgpr, 0
	.section	.AMDGPU.csdata,"",@progbits
	.type	.str,@object                    ; @.str
	.section	.rodata.str1.1,"aMS",@progbits,1
.str:
	.asciz	"%s:%s:%u: rocSPARSE failed assertion `warp_index < ((nnz_A - 1) / WF_SIZE + 1)', message: \"Warp index out of bounds.\"\n"
	.size	.str, 119

	.type	.str.1,@object                  ; @.str.1
.str.1:
	.asciz	"/root/src/amdgpu-assembly/repos/ROCm__rocSPARSE/library/src/conversion/csr2csr_compress_device.h"
	.size	.str.1, 97

	.type	__FUNCTION__._ZN9rocsparseL39csr2csr_compress_fill_warp_start_deviceILj256ELj32ELj2EfEEviPKT2_PjS1_,@object ; @__FUNCTION__._ZN9rocsparseL39csr2csr_compress_fill_warp_start_deviceILj256ELj32ELj2EfEEviPKT2_PjS1_
__FUNCTION__._ZN9rocsparseL39csr2csr_compress_fill_warp_start_deviceILj256ELj32ELj2EfEEviPKT2_PjS1_:
	.asciz	"csr2csr_compress_fill_warp_start_device"
	.size	__FUNCTION__._ZN9rocsparseL39csr2csr_compress_fill_warp_start_deviceILj256ELj32ELj2EfEEviPKT2_PjS1_, 40

	.type	.str.2,@object                  ; @.str.2
.str.2:
	.asciz	"%s:%s:%u: rocSPARSE failed assertion `count_previous_nnzs > 0', message: \"When predicate is true, non-zero count cannot be zero.\"\n"
	.size	.str.2, 131

	.type	__FUNCTION__._ZN9rocsparseL38csr2csr_compress_use_warp_start_deviceILj256ELj32ELj2EfEEvi21rocsparse_index_base_PKT2_PKiS1_PS2_PiPKjS2_,@object ; @__FUNCTION__._ZN9rocsparseL38csr2csr_compress_use_warp_start_deviceILj256ELj32ELj2EfEEvi21rocsparse_index_base_PKT2_PKiS1_PS2_PiPKjS2_
__FUNCTION__._ZN9rocsparseL38csr2csr_compress_use_warp_start_deviceILj256ELj32ELj2EfEEvi21rocsparse_index_base_PKT2_PKiS1_PS2_PiPKjS2_:
	.asciz	"csr2csr_compress_use_warp_start_device"
	.size	__FUNCTION__._ZN9rocsparseL38csr2csr_compress_use_warp_start_deviceILj256ELj32ELj2EfEEvi21rocsparse_index_base_PKT2_PKiS1_PS2_PiPKjS2_, 39

	.type	__hip_cuid_ec4da7bc8121a18f,@object ; @__hip_cuid_ec4da7bc8121a18f
	.section	.bss,"aw",@nobits
	.globl	__hip_cuid_ec4da7bc8121a18f
__hip_cuid_ec4da7bc8121a18f:
	.byte	0                               ; 0x0
	.size	__hip_cuid_ec4da7bc8121a18f, 1

	.ident	"AMD clang version 22.0.0git (https://github.com/RadeonOpenCompute/llvm-project roc-7.2.4 26084 f58b06dce1f9c15707c5f808fd002e18c2accf7e)"
	.section	".note.GNU-stack","",@progbits
	.addrsig
	.addrsig_sym __hip_cuid_ec4da7bc8121a18f
	.amdgpu_metadata
---
amdhsa.kernels:
  - .args:
      - .offset:         0
        .size:           4
        .value_kind:     by_value
      - .offset:         4
        .size:           4
        .value_kind:     by_value
      - .actual_access:  read_only
        .address_space:  global
        .offset:         8
        .size:           8
        .value_kind:     global_buffer
      - .actual_access:  write_only
        .address_space:  global
        .offset:         16
        .size:           8
        .value_kind:     global_buffer
    .group_segment_fixed_size: 0
    .kernarg_segment_align: 8
    .kernarg_segment_size: 24
    .language:       OpenCL C
    .language_version:
      - 2
      - 0
    .max_flat_workgroup_size: 1024
    .name:           _ZN9rocsparseL19fill_row_ptr_deviceILj1024EEEvi21rocsparse_index_base_PKiPi
    .private_segment_fixed_size: 0
    .sgpr_count:     14
    .sgpr_spill_count: 0
    .symbol:         _ZN9rocsparseL19fill_row_ptr_deviceILj1024EEEvi21rocsparse_index_base_PKiPi.kd
    .uniform_work_group_size: 1
    .uses_dynamic_stack: false
    .vgpr_count:     5
    .vgpr_spill_count: 0
    .wavefront_size: 64
  - .args:
      - .offset:         0
        .size:           4
        .value_kind:     by_value
      - .actual_access:  read_only
        .address_space:  global
        .offset:         8
        .size:           8
        .value_kind:     global_buffer
      - .actual_access:  write_only
        .address_space:  global
        .offset:         16
        .size:           8
        .value_kind:     global_buffer
      - .offset:         24
        .size:           4
        .value_kind:     by_value
      - .offset:         32
        .size:           4
        .value_kind:     hidden_block_count_x
      - .offset:         36
        .size:           4
        .value_kind:     hidden_block_count_y
      - .offset:         40
        .size:           4
        .value_kind:     hidden_block_count_z
      - .offset:         44
        .size:           2
        .value_kind:     hidden_group_size_x
      - .offset:         46
        .size:           2
        .value_kind:     hidden_group_size_y
      - .offset:         48
        .size:           2
        .value_kind:     hidden_group_size_z
      - .offset:         50
        .size:           2
        .value_kind:     hidden_remainder_x
      - .offset:         52
        .size:           2
        .value_kind:     hidden_remainder_y
      - .offset:         54
        .size:           2
        .value_kind:     hidden_remainder_z
      - .offset:         72
        .size:           8
        .value_kind:     hidden_global_offset_x
      - .offset:         80
        .size:           8
        .value_kind:     hidden_global_offset_y
      - .offset:         88
        .size:           8
        .value_kind:     hidden_global_offset_z
      - .offset:         96
        .size:           2
        .value_kind:     hidden_grid_dims
      - .offset:         112
        .size:           8
        .value_kind:     hidden_hostcall_buffer
    .group_segment_fixed_size: 0
    .kernarg_segment_align: 8
    .kernarg_segment_size: 288
    .language:       OpenCL C
    .language_version:
      - 2
      - 0
    .max_flat_workgroup_size: 256
    .name:           _ZN9rocsparseL39csr2csr_compress_fill_warp_start_deviceILj256ELj32ELj2EfEEviPKT2_PjS1_
    .private_segment_fixed_size: 0
    .sgpr_count:     23
    .sgpr_spill_count: 0
    .symbol:         _ZN9rocsparseL39csr2csr_compress_fill_warp_start_deviceILj256ELj32ELj2EfEEviPKT2_PjS1_.kd
    .uniform_work_group_size: 1
    .uses_dynamic_stack: false
    .vgpr_count:     34
    .vgpr_spill_count: 0
    .wavefront_size: 64
  - .args:
      - .offset:         0
        .size:           4
        .value_kind:     by_value
      - .actual_access:  read_only
        .address_space:  global
        .offset:         8
        .size:           8
        .value_kind:     global_buffer
      - .actual_access:  write_only
        .address_space:  global
        .offset:         16
        .size:           8
        .value_kind:     global_buffer
      - .offset:         24
        .size:           4
        .value_kind:     by_value
      - .offset:         32
        .size:           4
        .value_kind:     hidden_block_count_x
      - .offset:         36
        .size:           4
        .value_kind:     hidden_block_count_y
      - .offset:         40
        .size:           4
        .value_kind:     hidden_block_count_z
      - .offset:         44
        .size:           2
        .value_kind:     hidden_group_size_x
      - .offset:         46
        .size:           2
        .value_kind:     hidden_group_size_y
      - .offset:         48
        .size:           2
        .value_kind:     hidden_group_size_z
      - .offset:         50
        .size:           2
        .value_kind:     hidden_remainder_x
      - .offset:         52
        .size:           2
        .value_kind:     hidden_remainder_y
      - .offset:         54
        .size:           2
        .value_kind:     hidden_remainder_z
      - .offset:         72
        .size:           8
        .value_kind:     hidden_global_offset_x
      - .offset:         80
        .size:           8
        .value_kind:     hidden_global_offset_y
      - .offset:         88
        .size:           8
        .value_kind:     hidden_global_offset_z
      - .offset:         96
        .size:           2
        .value_kind:     hidden_grid_dims
      - .offset:         112
        .size:           8
        .value_kind:     hidden_hostcall_buffer
    .group_segment_fixed_size: 0
    .kernarg_segment_align: 8
    .kernarg_segment_size: 288
    .language:       OpenCL C
    .language_version:
      - 2
      - 0
    .max_flat_workgroup_size: 256
    .name:           _ZN9rocsparseL39csr2csr_compress_fill_warp_start_deviceILj256ELj64ELj2EfEEviPKT2_PjS1_
    .private_segment_fixed_size: 0
    .sgpr_count:     23
    .sgpr_spill_count: 0
    .symbol:         _ZN9rocsparseL39csr2csr_compress_fill_warp_start_deviceILj256ELj64ELj2EfEEviPKT2_PjS1_.kd
    .uniform_work_group_size: 1
    .uses_dynamic_stack: false
    .vgpr_count:     34
    .vgpr_spill_count: 0
    .wavefront_size: 64
  - .args:
      - .offset:         0
        .size:           4
        .value_kind:     by_value
      - .offset:         4
        .size:           4
        .value_kind:     by_value
      - .actual_access:  read_only
        .address_space:  global
        .offset:         8
        .size:           8
        .value_kind:     global_buffer
      - .actual_access:  read_only
        .address_space:  global
        .offset:         16
        .size:           8
        .value_kind:     global_buffer
      - .offset:         24
        .size:           4
        .value_kind:     by_value
      - .actual_access:  write_only
        .address_space:  global
        .offset:         32
        .size:           8
        .value_kind:     global_buffer
      - .actual_access:  write_only
        .address_space:  global
        .offset:         40
        .size:           8
        .value_kind:     global_buffer
      - .actual_access:  read_only
        .address_space:  global
        .offset:         48
        .size:           8
        .value_kind:     global_buffer
      - .offset:         56
        .size:           4
        .value_kind:     by_value
      - .offset:         64
        .size:           4
        .value_kind:     hidden_block_count_x
      - .offset:         68
        .size:           4
        .value_kind:     hidden_block_count_y
      - .offset:         72
        .size:           4
        .value_kind:     hidden_block_count_z
      - .offset:         76
        .size:           2
        .value_kind:     hidden_group_size_x
      - .offset:         78
        .size:           2
        .value_kind:     hidden_group_size_y
      - .offset:         80
        .size:           2
        .value_kind:     hidden_group_size_z
      - .offset:         82
        .size:           2
        .value_kind:     hidden_remainder_x
      - .offset:         84
        .size:           2
        .value_kind:     hidden_remainder_y
      - .offset:         86
        .size:           2
        .value_kind:     hidden_remainder_z
      - .offset:         104
        .size:           8
        .value_kind:     hidden_global_offset_x
      - .offset:         112
        .size:           8
        .value_kind:     hidden_global_offset_y
      - .offset:         120
        .size:           8
        .value_kind:     hidden_global_offset_z
      - .offset:         128
        .size:           2
        .value_kind:     hidden_grid_dims
      - .offset:         144
        .size:           8
        .value_kind:     hidden_hostcall_buffer
    .group_segment_fixed_size: 0
    .kernarg_segment_align: 8
    .kernarg_segment_size: 320
    .language:       OpenCL C
    .language_version:
      - 2
      - 0
    .max_flat_workgroup_size: 256
    .name:           _ZN9rocsparseL38csr2csr_compress_use_warp_start_deviceILj256ELj32ELj2EfEEvi21rocsparse_index_base_PKT2_PKiS1_PS2_PiPKjS2_
    .private_segment_fixed_size: 0
    .sgpr_count:     32
    .sgpr_spill_count: 0
    .symbol:         _ZN9rocsparseL38csr2csr_compress_use_warp_start_deviceILj256ELj32ELj2EfEEvi21rocsparse_index_base_PKT2_PKiS1_PS2_PiPKjS2_.kd
    .uniform_work_group_size: 1
    .uses_dynamic_stack: false
    .vgpr_count:     34
    .vgpr_spill_count: 0
    .wavefront_size: 64
  - .args:
      - .offset:         0
        .size:           4
        .value_kind:     by_value
      - .offset:         4
        .size:           4
        .value_kind:     by_value
      - .actual_access:  read_only
        .address_space:  global
        .offset:         8
        .size:           8
        .value_kind:     global_buffer
      - .actual_access:  read_only
        .address_space:  global
        .offset:         16
        .size:           8
        .value_kind:     global_buffer
      - .offset:         24
        .size:           4
        .value_kind:     by_value
      - .actual_access:  write_only
        .address_space:  global
        .offset:         32
        .size:           8
        .value_kind:     global_buffer
      - .actual_access:  write_only
        .address_space:  global
        .offset:         40
        .size:           8
        .value_kind:     global_buffer
      - .actual_access:  read_only
        .address_space:  global
        .offset:         48
        .size:           8
        .value_kind:     global_buffer
      - .offset:         56
        .size:           4
        .value_kind:     by_value
      - .offset:         64
        .size:           4
        .value_kind:     hidden_block_count_x
      - .offset:         68
        .size:           4
        .value_kind:     hidden_block_count_y
      - .offset:         72
        .size:           4
        .value_kind:     hidden_block_count_z
      - .offset:         76
        .size:           2
        .value_kind:     hidden_group_size_x
      - .offset:         78
        .size:           2
        .value_kind:     hidden_group_size_y
      - .offset:         80
        .size:           2
        .value_kind:     hidden_group_size_z
      - .offset:         82
        .size:           2
        .value_kind:     hidden_remainder_x
      - .offset:         84
        .size:           2
        .value_kind:     hidden_remainder_y
      - .offset:         86
        .size:           2
        .value_kind:     hidden_remainder_z
      - .offset:         104
        .size:           8
        .value_kind:     hidden_global_offset_x
      - .offset:         112
        .size:           8
        .value_kind:     hidden_global_offset_y
      - .offset:         120
        .size:           8
        .value_kind:     hidden_global_offset_z
      - .offset:         128
        .size:           2
        .value_kind:     hidden_grid_dims
      - .offset:         144
        .size:           8
        .value_kind:     hidden_hostcall_buffer
    .group_segment_fixed_size: 0
    .kernarg_segment_align: 8
    .kernarg_segment_size: 320
    .language:       OpenCL C
    .language_version:
      - 2
      - 0
    .max_flat_workgroup_size: 256
    .name:           _ZN9rocsparseL38csr2csr_compress_use_warp_start_deviceILj256ELj64ELj2EfEEvi21rocsparse_index_base_PKT2_PKiS1_PS2_PiPKjS2_
    .private_segment_fixed_size: 0
    .sgpr_count:     32
    .sgpr_spill_count: 0
    .symbol:         _ZN9rocsparseL38csr2csr_compress_use_warp_start_deviceILj256ELj64ELj2EfEEvi21rocsparse_index_base_PKT2_PKiS1_PS2_PiPKjS2_.kd
    .uniform_work_group_size: 1
    .uses_dynamic_stack: false
    .vgpr_count:     34
    .vgpr_spill_count: 0
    .wavefront_size: 64
  - .args:
      - .offset:         0
        .size:           4
        .value_kind:     by_value
      - .actual_access:  read_only
        .address_space:  global
        .offset:         8
        .size:           8
        .value_kind:     global_buffer
      - .actual_access:  write_only
        .address_space:  global
        .offset:         16
        .size:           8
        .value_kind:     global_buffer
      - .offset:         24
        .size:           8
        .value_kind:     by_value
      - .offset:         32
        .size:           4
        .value_kind:     hidden_block_count_x
      - .offset:         36
        .size:           4
        .value_kind:     hidden_block_count_y
      - .offset:         40
        .size:           4
        .value_kind:     hidden_block_count_z
      - .offset:         44
        .size:           2
        .value_kind:     hidden_group_size_x
      - .offset:         46
        .size:           2
        .value_kind:     hidden_group_size_y
      - .offset:         48
        .size:           2
        .value_kind:     hidden_group_size_z
      - .offset:         50
        .size:           2
        .value_kind:     hidden_remainder_x
      - .offset:         52
        .size:           2
        .value_kind:     hidden_remainder_y
      - .offset:         54
        .size:           2
        .value_kind:     hidden_remainder_z
      - .offset:         72
        .size:           8
        .value_kind:     hidden_global_offset_x
      - .offset:         80
        .size:           8
        .value_kind:     hidden_global_offset_y
      - .offset:         88
        .size:           8
        .value_kind:     hidden_global_offset_z
      - .offset:         96
        .size:           2
        .value_kind:     hidden_grid_dims
      - .offset:         112
        .size:           8
        .value_kind:     hidden_hostcall_buffer
    .group_segment_fixed_size: 0
    .kernarg_segment_align: 8
    .kernarg_segment_size: 288
    .language:       OpenCL C
    .language_version:
      - 2
      - 0
    .max_flat_workgroup_size: 256
    .name:           _ZN9rocsparseL39csr2csr_compress_fill_warp_start_deviceILj256ELj32ELj2EdEEviPKT2_PjS1_
    .private_segment_fixed_size: 0
    .sgpr_count:     24
    .sgpr_spill_count: 0
    .symbol:         _ZN9rocsparseL39csr2csr_compress_fill_warp_start_deviceILj256ELj32ELj2EdEEviPKT2_PjS1_.kd
    .uniform_work_group_size: 1
    .uses_dynamic_stack: false
    .vgpr_count:     34
    .vgpr_spill_count: 0
    .wavefront_size: 64
  - .args:
      - .offset:         0
        .size:           4
        .value_kind:     by_value
      - .actual_access:  read_only
        .address_space:  global
        .offset:         8
        .size:           8
        .value_kind:     global_buffer
      - .actual_access:  write_only
        .address_space:  global
        .offset:         16
        .size:           8
        .value_kind:     global_buffer
      - .offset:         24
        .size:           8
        .value_kind:     by_value
      - .offset:         32
        .size:           4
        .value_kind:     hidden_block_count_x
      - .offset:         36
        .size:           4
        .value_kind:     hidden_block_count_y
      - .offset:         40
        .size:           4
        .value_kind:     hidden_block_count_z
      - .offset:         44
        .size:           2
        .value_kind:     hidden_group_size_x
      - .offset:         46
        .size:           2
        .value_kind:     hidden_group_size_y
      - .offset:         48
        .size:           2
        .value_kind:     hidden_group_size_z
      - .offset:         50
        .size:           2
        .value_kind:     hidden_remainder_x
      - .offset:         52
        .size:           2
        .value_kind:     hidden_remainder_y
      - .offset:         54
        .size:           2
        .value_kind:     hidden_remainder_z
      - .offset:         72
        .size:           8
        .value_kind:     hidden_global_offset_x
      - .offset:         80
        .size:           8
        .value_kind:     hidden_global_offset_y
      - .offset:         88
        .size:           8
        .value_kind:     hidden_global_offset_z
      - .offset:         96
        .size:           2
        .value_kind:     hidden_grid_dims
      - .offset:         112
        .size:           8
        .value_kind:     hidden_hostcall_buffer
    .group_segment_fixed_size: 0
    .kernarg_segment_align: 8
    .kernarg_segment_size: 288
    .language:       OpenCL C
    .language_version:
      - 2
      - 0
    .max_flat_workgroup_size: 256
    .name:           _ZN9rocsparseL39csr2csr_compress_fill_warp_start_deviceILj256ELj64ELj2EdEEviPKT2_PjS1_
    .private_segment_fixed_size: 0
    .sgpr_count:     24
    .sgpr_spill_count: 0
    .symbol:         _ZN9rocsparseL39csr2csr_compress_fill_warp_start_deviceILj256ELj64ELj2EdEEviPKT2_PjS1_.kd
    .uniform_work_group_size: 1
    .uses_dynamic_stack: false
    .vgpr_count:     34
    .vgpr_spill_count: 0
    .wavefront_size: 64
  - .args:
      - .offset:         0
        .size:           4
        .value_kind:     by_value
      - .offset:         4
        .size:           4
        .value_kind:     by_value
      - .actual_access:  read_only
        .address_space:  global
        .offset:         8
        .size:           8
        .value_kind:     global_buffer
      - .actual_access:  read_only
        .address_space:  global
        .offset:         16
        .size:           8
        .value_kind:     global_buffer
      - .offset:         24
        .size:           4
        .value_kind:     by_value
      - .actual_access:  write_only
        .address_space:  global
        .offset:         32
        .size:           8
        .value_kind:     global_buffer
      - .actual_access:  write_only
        .address_space:  global
        .offset:         40
        .size:           8
        .value_kind:     global_buffer
      - .actual_access:  read_only
        .address_space:  global
        .offset:         48
        .size:           8
        .value_kind:     global_buffer
      - .offset:         56
        .size:           8
        .value_kind:     by_value
      - .offset:         64
        .size:           4
        .value_kind:     hidden_block_count_x
      - .offset:         68
        .size:           4
        .value_kind:     hidden_block_count_y
      - .offset:         72
        .size:           4
        .value_kind:     hidden_block_count_z
      - .offset:         76
        .size:           2
        .value_kind:     hidden_group_size_x
      - .offset:         78
        .size:           2
        .value_kind:     hidden_group_size_y
      - .offset:         80
        .size:           2
        .value_kind:     hidden_group_size_z
      - .offset:         82
        .size:           2
        .value_kind:     hidden_remainder_x
      - .offset:         84
        .size:           2
        .value_kind:     hidden_remainder_y
      - .offset:         86
        .size:           2
        .value_kind:     hidden_remainder_z
      - .offset:         104
        .size:           8
        .value_kind:     hidden_global_offset_x
      - .offset:         112
        .size:           8
        .value_kind:     hidden_global_offset_y
      - .offset:         120
        .size:           8
        .value_kind:     hidden_global_offset_z
      - .offset:         128
        .size:           2
        .value_kind:     hidden_grid_dims
      - .offset:         144
        .size:           8
        .value_kind:     hidden_hostcall_buffer
    .group_segment_fixed_size: 0
    .kernarg_segment_align: 8
    .kernarg_segment_size: 320
    .language:       OpenCL C
    .language_version:
      - 2
      - 0
    .max_flat_workgroup_size: 256
    .name:           _ZN9rocsparseL38csr2csr_compress_use_warp_start_deviceILj256ELj32ELj2EdEEvi21rocsparse_index_base_PKT2_PKiS1_PS2_PiPKjS2_
    .private_segment_fixed_size: 0
    .sgpr_count:     33
    .sgpr_spill_count: 0
    .symbol:         _ZN9rocsparseL38csr2csr_compress_use_warp_start_deviceILj256ELj32ELj2EdEEvi21rocsparse_index_base_PKT2_PKiS1_PS2_PiPKjS2_.kd
    .uniform_work_group_size: 1
    .uses_dynamic_stack: false
    .vgpr_count:     34
    .vgpr_spill_count: 0
    .wavefront_size: 64
  - .args:
      - .offset:         0
        .size:           4
        .value_kind:     by_value
      - .offset:         4
        .size:           4
        .value_kind:     by_value
      - .actual_access:  read_only
        .address_space:  global
        .offset:         8
        .size:           8
        .value_kind:     global_buffer
      - .actual_access:  read_only
        .address_space:  global
        .offset:         16
        .size:           8
        .value_kind:     global_buffer
      - .offset:         24
        .size:           4
        .value_kind:     by_value
      - .actual_access:  write_only
        .address_space:  global
        .offset:         32
        .size:           8
        .value_kind:     global_buffer
      - .actual_access:  write_only
        .address_space:  global
        .offset:         40
        .size:           8
        .value_kind:     global_buffer
      - .actual_access:  read_only
        .address_space:  global
        .offset:         48
        .size:           8
        .value_kind:     global_buffer
      - .offset:         56
        .size:           8
        .value_kind:     by_value
      - .offset:         64
        .size:           4
        .value_kind:     hidden_block_count_x
      - .offset:         68
        .size:           4
        .value_kind:     hidden_block_count_y
      - .offset:         72
        .size:           4
        .value_kind:     hidden_block_count_z
      - .offset:         76
        .size:           2
        .value_kind:     hidden_group_size_x
      - .offset:         78
        .size:           2
        .value_kind:     hidden_group_size_y
      - .offset:         80
        .size:           2
        .value_kind:     hidden_group_size_z
      - .offset:         82
        .size:           2
        .value_kind:     hidden_remainder_x
      - .offset:         84
        .size:           2
        .value_kind:     hidden_remainder_y
      - .offset:         86
        .size:           2
        .value_kind:     hidden_remainder_z
      - .offset:         104
        .size:           8
        .value_kind:     hidden_global_offset_x
      - .offset:         112
        .size:           8
        .value_kind:     hidden_global_offset_y
      - .offset:         120
        .size:           8
        .value_kind:     hidden_global_offset_z
      - .offset:         128
        .size:           2
        .value_kind:     hidden_grid_dims
      - .offset:         144
        .size:           8
        .value_kind:     hidden_hostcall_buffer
    .group_segment_fixed_size: 0
    .kernarg_segment_align: 8
    .kernarg_segment_size: 320
    .language:       OpenCL C
    .language_version:
      - 2
      - 0
    .max_flat_workgroup_size: 256
    .name:           _ZN9rocsparseL38csr2csr_compress_use_warp_start_deviceILj256ELj64ELj2EdEEvi21rocsparse_index_base_PKT2_PKiS1_PS2_PiPKjS2_
    .private_segment_fixed_size: 0
    .sgpr_count:     33
    .sgpr_spill_count: 0
    .symbol:         _ZN9rocsparseL38csr2csr_compress_use_warp_start_deviceILj256ELj64ELj2EdEEvi21rocsparse_index_base_PKT2_PKiS1_PS2_PiPKjS2_.kd
    .uniform_work_group_size: 1
    .uses_dynamic_stack: false
    .vgpr_count:     34
    .vgpr_spill_count: 0
    .wavefront_size: 64
  - .args:
      - .offset:         0
        .size:           4
        .value_kind:     by_value
      - .actual_access:  read_only
        .address_space:  global
        .offset:         8
        .size:           8
        .value_kind:     global_buffer
      - .actual_access:  write_only
        .address_space:  global
        .offset:         16
        .size:           8
        .value_kind:     global_buffer
      - .offset:         24
        .size:           8
        .value_kind:     by_value
      - .offset:         32
        .size:           4
        .value_kind:     hidden_block_count_x
      - .offset:         36
        .size:           4
        .value_kind:     hidden_block_count_y
      - .offset:         40
        .size:           4
        .value_kind:     hidden_block_count_z
      - .offset:         44
        .size:           2
        .value_kind:     hidden_group_size_x
      - .offset:         46
        .size:           2
        .value_kind:     hidden_group_size_y
      - .offset:         48
        .size:           2
        .value_kind:     hidden_group_size_z
      - .offset:         50
        .size:           2
        .value_kind:     hidden_remainder_x
      - .offset:         52
        .size:           2
        .value_kind:     hidden_remainder_y
      - .offset:         54
        .size:           2
        .value_kind:     hidden_remainder_z
      - .offset:         72
        .size:           8
        .value_kind:     hidden_global_offset_x
      - .offset:         80
        .size:           8
        .value_kind:     hidden_global_offset_y
      - .offset:         88
        .size:           8
        .value_kind:     hidden_global_offset_z
      - .offset:         96
        .size:           2
        .value_kind:     hidden_grid_dims
      - .offset:         112
        .size:           8
        .value_kind:     hidden_hostcall_buffer
    .group_segment_fixed_size: 0
    .kernarg_segment_align: 8
    .kernarg_segment_size: 288
    .language:       OpenCL C
    .language_version:
      - 2
      - 0
    .max_flat_workgroup_size: 256
    .name:           _ZN9rocsparseL39csr2csr_compress_fill_warp_start_deviceILj256ELj32ELj2E21rocsparse_complex_numIfEEEviPKT2_PjS3_
    .private_segment_fixed_size: 0
    .sgpr_count:     24
    .sgpr_spill_count: 0
    .symbol:         _ZN9rocsparseL39csr2csr_compress_fill_warp_start_deviceILj256ELj32ELj2E21rocsparse_complex_numIfEEEviPKT2_PjS3_.kd
    .uniform_work_group_size: 1
    .uses_dynamic_stack: false
    .vgpr_count:     34
    .vgpr_spill_count: 0
    .wavefront_size: 64
  - .args:
      - .offset:         0
        .size:           4
        .value_kind:     by_value
      - .actual_access:  read_only
        .address_space:  global
        .offset:         8
        .size:           8
        .value_kind:     global_buffer
      - .actual_access:  write_only
        .address_space:  global
        .offset:         16
        .size:           8
        .value_kind:     global_buffer
      - .offset:         24
        .size:           8
        .value_kind:     by_value
      - .offset:         32
        .size:           4
        .value_kind:     hidden_block_count_x
      - .offset:         36
        .size:           4
        .value_kind:     hidden_block_count_y
      - .offset:         40
        .size:           4
        .value_kind:     hidden_block_count_z
      - .offset:         44
        .size:           2
        .value_kind:     hidden_group_size_x
      - .offset:         46
        .size:           2
        .value_kind:     hidden_group_size_y
      - .offset:         48
        .size:           2
        .value_kind:     hidden_group_size_z
      - .offset:         50
        .size:           2
        .value_kind:     hidden_remainder_x
      - .offset:         52
        .size:           2
        .value_kind:     hidden_remainder_y
      - .offset:         54
        .size:           2
        .value_kind:     hidden_remainder_z
      - .offset:         72
        .size:           8
        .value_kind:     hidden_global_offset_x
      - .offset:         80
        .size:           8
        .value_kind:     hidden_global_offset_y
      - .offset:         88
        .size:           8
        .value_kind:     hidden_global_offset_z
      - .offset:         96
        .size:           2
        .value_kind:     hidden_grid_dims
      - .offset:         112
        .size:           8
        .value_kind:     hidden_hostcall_buffer
    .group_segment_fixed_size: 0
    .kernarg_segment_align: 8
    .kernarg_segment_size: 288
    .language:       OpenCL C
    .language_version:
      - 2
      - 0
    .max_flat_workgroup_size: 256
    .name:           _ZN9rocsparseL39csr2csr_compress_fill_warp_start_deviceILj256ELj64ELj2E21rocsparse_complex_numIfEEEviPKT2_PjS3_
    .private_segment_fixed_size: 0
    .sgpr_count:     24
    .sgpr_spill_count: 0
    .symbol:         _ZN9rocsparseL39csr2csr_compress_fill_warp_start_deviceILj256ELj64ELj2E21rocsparse_complex_numIfEEEviPKT2_PjS3_.kd
    .uniform_work_group_size: 1
    .uses_dynamic_stack: false
    .vgpr_count:     34
    .vgpr_spill_count: 0
    .wavefront_size: 64
  - .args:
      - .offset:         0
        .size:           4
        .value_kind:     by_value
      - .offset:         4
        .size:           4
        .value_kind:     by_value
      - .actual_access:  read_only
        .address_space:  global
        .offset:         8
        .size:           8
        .value_kind:     global_buffer
      - .actual_access:  read_only
        .address_space:  global
        .offset:         16
        .size:           8
        .value_kind:     global_buffer
      - .offset:         24
        .size:           4
        .value_kind:     by_value
      - .actual_access:  write_only
        .address_space:  global
        .offset:         32
        .size:           8
        .value_kind:     global_buffer
      - .actual_access:  write_only
        .address_space:  global
        .offset:         40
        .size:           8
        .value_kind:     global_buffer
      - .actual_access:  read_only
        .address_space:  global
        .offset:         48
        .size:           8
        .value_kind:     global_buffer
      - .offset:         56
        .size:           8
        .value_kind:     by_value
      - .offset:         64
        .size:           4
        .value_kind:     hidden_block_count_x
      - .offset:         68
        .size:           4
        .value_kind:     hidden_block_count_y
      - .offset:         72
        .size:           4
        .value_kind:     hidden_block_count_z
      - .offset:         76
        .size:           2
        .value_kind:     hidden_group_size_x
      - .offset:         78
        .size:           2
        .value_kind:     hidden_group_size_y
      - .offset:         80
        .size:           2
        .value_kind:     hidden_group_size_z
      - .offset:         82
        .size:           2
        .value_kind:     hidden_remainder_x
      - .offset:         84
        .size:           2
        .value_kind:     hidden_remainder_y
      - .offset:         86
        .size:           2
        .value_kind:     hidden_remainder_z
      - .offset:         104
        .size:           8
        .value_kind:     hidden_global_offset_x
      - .offset:         112
        .size:           8
        .value_kind:     hidden_global_offset_y
      - .offset:         120
        .size:           8
        .value_kind:     hidden_global_offset_z
      - .offset:         128
        .size:           2
        .value_kind:     hidden_grid_dims
      - .offset:         144
        .size:           8
        .value_kind:     hidden_hostcall_buffer
    .group_segment_fixed_size: 0
    .kernarg_segment_align: 8
    .kernarg_segment_size: 320
    .language:       OpenCL C
    .language_version:
      - 2
      - 0
    .max_flat_workgroup_size: 256
    .name:           _ZN9rocsparseL38csr2csr_compress_use_warp_start_deviceILj256ELj32ELj2E21rocsparse_complex_numIfEEEvi21rocsparse_index_base_PKT2_PKiS3_PS4_PiPKjS4_
    .private_segment_fixed_size: 0
    .sgpr_count:     30
    .sgpr_spill_count: 0
    .symbol:         _ZN9rocsparseL38csr2csr_compress_use_warp_start_deviceILj256ELj32ELj2E21rocsparse_complex_numIfEEEvi21rocsparse_index_base_PKT2_PKiS3_PS4_PiPKjS4_.kd
    .uniform_work_group_size: 1
    .uses_dynamic_stack: false
    .vgpr_count:     34
    .vgpr_spill_count: 0
    .wavefront_size: 64
  - .args:
      - .offset:         0
        .size:           4
        .value_kind:     by_value
      - .offset:         4
        .size:           4
        .value_kind:     by_value
      - .actual_access:  read_only
        .address_space:  global
        .offset:         8
        .size:           8
        .value_kind:     global_buffer
      - .actual_access:  read_only
        .address_space:  global
        .offset:         16
        .size:           8
        .value_kind:     global_buffer
      - .offset:         24
        .size:           4
        .value_kind:     by_value
      - .actual_access:  write_only
        .address_space:  global
        .offset:         32
        .size:           8
        .value_kind:     global_buffer
      - .actual_access:  write_only
        .address_space:  global
        .offset:         40
        .size:           8
        .value_kind:     global_buffer
      - .actual_access:  read_only
        .address_space:  global
        .offset:         48
        .size:           8
        .value_kind:     global_buffer
      - .offset:         56
        .size:           8
        .value_kind:     by_value
      - .offset:         64
        .size:           4
        .value_kind:     hidden_block_count_x
      - .offset:         68
        .size:           4
        .value_kind:     hidden_block_count_y
      - .offset:         72
        .size:           4
        .value_kind:     hidden_block_count_z
      - .offset:         76
        .size:           2
        .value_kind:     hidden_group_size_x
      - .offset:         78
        .size:           2
        .value_kind:     hidden_group_size_y
      - .offset:         80
        .size:           2
        .value_kind:     hidden_group_size_z
      - .offset:         82
        .size:           2
        .value_kind:     hidden_remainder_x
      - .offset:         84
        .size:           2
        .value_kind:     hidden_remainder_y
      - .offset:         86
        .size:           2
        .value_kind:     hidden_remainder_z
      - .offset:         104
        .size:           8
        .value_kind:     hidden_global_offset_x
      - .offset:         112
        .size:           8
        .value_kind:     hidden_global_offset_y
      - .offset:         120
        .size:           8
        .value_kind:     hidden_global_offset_z
      - .offset:         128
        .size:           2
        .value_kind:     hidden_grid_dims
      - .offset:         144
        .size:           8
        .value_kind:     hidden_hostcall_buffer
    .group_segment_fixed_size: 0
    .kernarg_segment_align: 8
    .kernarg_segment_size: 320
    .language:       OpenCL C
    .language_version:
      - 2
      - 0
    .max_flat_workgroup_size: 256
    .name:           _ZN9rocsparseL38csr2csr_compress_use_warp_start_deviceILj256ELj64ELj2E21rocsparse_complex_numIfEEEvi21rocsparse_index_base_PKT2_PKiS3_PS4_PiPKjS4_
    .private_segment_fixed_size: 0
    .sgpr_count:     30
    .sgpr_spill_count: 0
    .symbol:         _ZN9rocsparseL38csr2csr_compress_use_warp_start_deviceILj256ELj64ELj2E21rocsparse_complex_numIfEEEvi21rocsparse_index_base_PKT2_PKiS3_PS4_PiPKjS4_.kd
    .uniform_work_group_size: 1
    .uses_dynamic_stack: false
    .vgpr_count:     34
    .vgpr_spill_count: 0
    .wavefront_size: 64
  - .args:
      - .offset:         0
        .size:           4
        .value_kind:     by_value
      - .actual_access:  read_only
        .address_space:  global
        .offset:         8
        .size:           8
        .value_kind:     global_buffer
      - .actual_access:  write_only
        .address_space:  global
        .offset:         16
        .size:           8
        .value_kind:     global_buffer
      - .offset:         24
        .size:           16
        .value_kind:     by_value
      - .offset:         40
        .size:           4
        .value_kind:     hidden_block_count_x
      - .offset:         44
        .size:           4
        .value_kind:     hidden_block_count_y
      - .offset:         48
        .size:           4
        .value_kind:     hidden_block_count_z
      - .offset:         52
        .size:           2
        .value_kind:     hidden_group_size_x
      - .offset:         54
        .size:           2
        .value_kind:     hidden_group_size_y
      - .offset:         56
        .size:           2
        .value_kind:     hidden_group_size_z
      - .offset:         58
        .size:           2
        .value_kind:     hidden_remainder_x
      - .offset:         60
        .size:           2
        .value_kind:     hidden_remainder_y
      - .offset:         62
        .size:           2
        .value_kind:     hidden_remainder_z
      - .offset:         80
        .size:           8
        .value_kind:     hidden_global_offset_x
      - .offset:         88
        .size:           8
        .value_kind:     hidden_global_offset_y
      - .offset:         96
        .size:           8
        .value_kind:     hidden_global_offset_z
      - .offset:         104
        .size:           2
        .value_kind:     hidden_grid_dims
      - .offset:         120
        .size:           8
        .value_kind:     hidden_hostcall_buffer
    .group_segment_fixed_size: 0
    .kernarg_segment_align: 8
    .kernarg_segment_size: 296
    .language:       OpenCL C
    .language_version:
      - 2
      - 0
    .max_flat_workgroup_size: 256
    .name:           _ZN9rocsparseL39csr2csr_compress_fill_warp_start_deviceILj256ELj32ELj2E21rocsparse_complex_numIdEEEviPKT2_PjS3_
    .private_segment_fixed_size: 0
    .sgpr_count:     26
    .sgpr_spill_count: 0
    .symbol:         _ZN9rocsparseL39csr2csr_compress_fill_warp_start_deviceILj256ELj32ELj2E21rocsparse_complex_numIdEEEviPKT2_PjS3_.kd
    .uniform_work_group_size: 1
    .uses_dynamic_stack: false
    .vgpr_count:     34
    .vgpr_spill_count: 0
    .wavefront_size: 64
  - .args:
      - .offset:         0
        .size:           4
        .value_kind:     by_value
      - .actual_access:  read_only
        .address_space:  global
        .offset:         8
        .size:           8
        .value_kind:     global_buffer
      - .actual_access:  write_only
        .address_space:  global
        .offset:         16
        .size:           8
        .value_kind:     global_buffer
      - .offset:         24
        .size:           16
        .value_kind:     by_value
      - .offset:         40
        .size:           4
        .value_kind:     hidden_block_count_x
      - .offset:         44
        .size:           4
        .value_kind:     hidden_block_count_y
      - .offset:         48
        .size:           4
        .value_kind:     hidden_block_count_z
      - .offset:         52
        .size:           2
        .value_kind:     hidden_group_size_x
      - .offset:         54
        .size:           2
        .value_kind:     hidden_group_size_y
      - .offset:         56
        .size:           2
        .value_kind:     hidden_group_size_z
      - .offset:         58
        .size:           2
        .value_kind:     hidden_remainder_x
      - .offset:         60
        .size:           2
        .value_kind:     hidden_remainder_y
      - .offset:         62
        .size:           2
        .value_kind:     hidden_remainder_z
      - .offset:         80
        .size:           8
        .value_kind:     hidden_global_offset_x
      - .offset:         88
        .size:           8
        .value_kind:     hidden_global_offset_y
      - .offset:         96
        .size:           8
        .value_kind:     hidden_global_offset_z
      - .offset:         104
        .size:           2
        .value_kind:     hidden_grid_dims
      - .offset:         120
        .size:           8
        .value_kind:     hidden_hostcall_buffer
    .group_segment_fixed_size: 0
    .kernarg_segment_align: 8
    .kernarg_segment_size: 296
    .language:       OpenCL C
    .language_version:
      - 2
      - 0
    .max_flat_workgroup_size: 256
    .name:           _ZN9rocsparseL39csr2csr_compress_fill_warp_start_deviceILj256ELj64ELj2E21rocsparse_complex_numIdEEEviPKT2_PjS3_
    .private_segment_fixed_size: 0
    .sgpr_count:     26
    .sgpr_spill_count: 0
    .symbol:         _ZN9rocsparseL39csr2csr_compress_fill_warp_start_deviceILj256ELj64ELj2E21rocsparse_complex_numIdEEEviPKT2_PjS3_.kd
    .uniform_work_group_size: 1
    .uses_dynamic_stack: false
    .vgpr_count:     34
    .vgpr_spill_count: 0
    .wavefront_size: 64
  - .args:
      - .offset:         0
        .size:           4
        .value_kind:     by_value
      - .offset:         4
        .size:           4
        .value_kind:     by_value
      - .actual_access:  read_only
        .address_space:  global
        .offset:         8
        .size:           8
        .value_kind:     global_buffer
      - .actual_access:  read_only
        .address_space:  global
        .offset:         16
        .size:           8
        .value_kind:     global_buffer
      - .offset:         24
        .size:           4
        .value_kind:     by_value
      - .actual_access:  write_only
        .address_space:  global
        .offset:         32
        .size:           8
        .value_kind:     global_buffer
      - .actual_access:  write_only
        .address_space:  global
        .offset:         40
        .size:           8
        .value_kind:     global_buffer
      - .actual_access:  read_only
        .address_space:  global
        .offset:         48
        .size:           8
        .value_kind:     global_buffer
      - .offset:         56
        .size:           16
        .value_kind:     by_value
      - .offset:         72
        .size:           4
        .value_kind:     hidden_block_count_x
      - .offset:         76
        .size:           4
        .value_kind:     hidden_block_count_y
      - .offset:         80
        .size:           4
        .value_kind:     hidden_block_count_z
      - .offset:         84
        .size:           2
        .value_kind:     hidden_group_size_x
      - .offset:         86
        .size:           2
        .value_kind:     hidden_group_size_y
      - .offset:         88
        .size:           2
        .value_kind:     hidden_group_size_z
      - .offset:         90
        .size:           2
        .value_kind:     hidden_remainder_x
      - .offset:         92
        .size:           2
        .value_kind:     hidden_remainder_y
      - .offset:         94
        .size:           2
        .value_kind:     hidden_remainder_z
      - .offset:         112
        .size:           8
        .value_kind:     hidden_global_offset_x
      - .offset:         120
        .size:           8
        .value_kind:     hidden_global_offset_y
      - .offset:         128
        .size:           8
        .value_kind:     hidden_global_offset_z
      - .offset:         136
        .size:           2
        .value_kind:     hidden_grid_dims
      - .offset:         152
        .size:           8
        .value_kind:     hidden_hostcall_buffer
    .group_segment_fixed_size: 0
    .kernarg_segment_align: 8
    .kernarg_segment_size: 328
    .language:       OpenCL C
    .language_version:
      - 2
      - 0
    .max_flat_workgroup_size: 256
    .name:           _ZN9rocsparseL38csr2csr_compress_use_warp_start_deviceILj256ELj32ELj2E21rocsparse_complex_numIdEEEvi21rocsparse_index_base_PKT2_PKiS3_PS4_PiPKjS4_
    .private_segment_fixed_size: 0
    .sgpr_count:     33
    .sgpr_spill_count: 0
    .symbol:         _ZN9rocsparseL38csr2csr_compress_use_warp_start_deviceILj256ELj32ELj2E21rocsparse_complex_numIdEEEvi21rocsparse_index_base_PKT2_PKiS3_PS4_PiPKjS4_.kd
    .uniform_work_group_size: 1
    .uses_dynamic_stack: false
    .vgpr_count:     34
    .vgpr_spill_count: 0
    .wavefront_size: 64
  - .args:
      - .offset:         0
        .size:           4
        .value_kind:     by_value
      - .offset:         4
        .size:           4
        .value_kind:     by_value
      - .actual_access:  read_only
        .address_space:  global
        .offset:         8
        .size:           8
        .value_kind:     global_buffer
      - .actual_access:  read_only
        .address_space:  global
        .offset:         16
        .size:           8
        .value_kind:     global_buffer
      - .offset:         24
        .size:           4
        .value_kind:     by_value
      - .actual_access:  write_only
        .address_space:  global
        .offset:         32
        .size:           8
        .value_kind:     global_buffer
      - .actual_access:  write_only
        .address_space:  global
        .offset:         40
        .size:           8
        .value_kind:     global_buffer
      - .actual_access:  read_only
        .address_space:  global
        .offset:         48
        .size:           8
        .value_kind:     global_buffer
      - .offset:         56
        .size:           16
        .value_kind:     by_value
      - .offset:         72
        .size:           4
        .value_kind:     hidden_block_count_x
      - .offset:         76
        .size:           4
        .value_kind:     hidden_block_count_y
      - .offset:         80
        .size:           4
        .value_kind:     hidden_block_count_z
      - .offset:         84
        .size:           2
        .value_kind:     hidden_group_size_x
      - .offset:         86
        .size:           2
        .value_kind:     hidden_group_size_y
      - .offset:         88
        .size:           2
        .value_kind:     hidden_group_size_z
      - .offset:         90
        .size:           2
        .value_kind:     hidden_remainder_x
      - .offset:         92
        .size:           2
        .value_kind:     hidden_remainder_y
      - .offset:         94
        .size:           2
        .value_kind:     hidden_remainder_z
      - .offset:         112
        .size:           8
        .value_kind:     hidden_global_offset_x
      - .offset:         120
        .size:           8
        .value_kind:     hidden_global_offset_y
      - .offset:         128
        .size:           8
        .value_kind:     hidden_global_offset_z
      - .offset:         136
        .size:           2
        .value_kind:     hidden_grid_dims
      - .offset:         152
        .size:           8
        .value_kind:     hidden_hostcall_buffer
    .group_segment_fixed_size: 0
    .kernarg_segment_align: 8
    .kernarg_segment_size: 328
    .language:       OpenCL C
    .language_version:
      - 2
      - 0
    .max_flat_workgroup_size: 256
    .name:           _ZN9rocsparseL38csr2csr_compress_use_warp_start_deviceILj256ELj64ELj2E21rocsparse_complex_numIdEEEvi21rocsparse_index_base_PKT2_PKiS3_PS4_PiPKjS4_
    .private_segment_fixed_size: 0
    .sgpr_count:     33
    .sgpr_spill_count: 0
    .symbol:         _ZN9rocsparseL38csr2csr_compress_use_warp_start_deviceILj256ELj64ELj2E21rocsparse_complex_numIdEEEvi21rocsparse_index_base_PKT2_PKiS3_PS4_PiPKjS4_.kd
    .uniform_work_group_size: 1
    .uses_dynamic_stack: false
    .vgpr_count:     34
    .vgpr_spill_count: 0
    .wavefront_size: 64
amdhsa.target:   amdgcn-amd-amdhsa--gfx906
amdhsa.version:
  - 1
  - 2
...

	.end_amdgpu_metadata
